;; amdgpu-corpus repo=zjin-lcf/HeCBench kind=compiled arch=gfx1250 opt=O3
	.amdgcn_target "amdgcn-amd-amdhsa--gfx1250"
	.amdhsa_code_object_version 6
	.section	.text._Z21generate_paths_kernelILi256E9PayoffPutEviiT0_ddddPKdPd,"axG",@progbits,_Z21generate_paths_kernelILi256E9PayoffPutEviiT0_ddddPKdPd,comdat
	.protected	_Z21generate_paths_kernelILi256E9PayoffPutEviiT0_ddddPKdPd ; -- Begin function _Z21generate_paths_kernelILi256E9PayoffPutEviiT0_ddddPKdPd
	.globl	_Z21generate_paths_kernelILi256E9PayoffPutEviiT0_ddddPKdPd
	.p2align	8
	.type	_Z21generate_paths_kernelILi256E9PayoffPutEviiT0_ddddPKdPd,@function
_Z21generate_paths_kernelILi256E9PayoffPutEviiT0_ddddPKdPd: ; @_Z21generate_paths_kernelILi256E9PayoffPutEviiT0_ddddPKdPd
; %bb.0:
	s_load_b64 s[2:3], s[0:1], 0x0
	s_bfe_u32 s4, ttmp6, 0x4000c
	s_and_b32 s5, ttmp6, 15
	s_add_co_i32 s4, s4, 1
	s_getreg_b32 s6, hwreg(HW_REG_IB_STS2, 6, 4)
	s_mul_i32 s4, ttmp9, s4
	s_delay_alu instid0(SALU_CYCLE_1) | instskip(SKIP_2) | instid1(SALU_CYCLE_1)
	s_add_co_i32 s5, s5, s4
	s_cmp_eq_u32 s6, 0
	s_cselect_b32 s4, ttmp9, s5
	v_lshl_or_b32 v0, s4, 8, v0
	s_mov_b32 s4, exec_lo
	s_wait_kmcnt 0x0
	s_delay_alu instid0(VALU_DEP_1)
	v_cmpx_gt_i32_e64 s3, v0
	s_cbranch_execz .LBB0_6
; %bb.1:
	s_clause 0x1
	s_load_b256 s[4:11], s[0:1], 0x8
	s_load_b64 s[16:17], s[0:1], 0x38
	s_wait_kmcnt 0x0
	v_cmp_gt_f64_e64 s12, 0x10000000, s[6:7]
	s_and_b32 s12, s12, exec_lo
	s_cselect_b32 s12, 0x100, 0
	s_delay_alu instid0(SALU_CYCLE_1) | instskip(SKIP_4) | instid1(VALU_DEP_1)
	v_ldexp_f64 v[2:3], s[6:7], s12
	s_load_b128 s[12:15], s[0:1], 0x28
	s_wait_xcnt 0x0
	s_cselect_b32 s0, 0xffffff80, 0
	s_cmp_lt_i32 s2, 2
	v_rsq_f64_e32 v[4:5], v[2:3]
	v_cmp_class_f64_e64 vcc_lo, v[2:3], 0x260
	s_delay_alu instid0(TRANS32_DEP_1) | instskip(SKIP_1) | instid1(VALU_DEP_1)
	v_mul_f64_e32 v[6:7], v[2:3], v[4:5]
	v_mul_f64_e32 v[4:5], 0.5, v[4:5]
	v_fma_f64 v[8:9], -v[4:5], v[6:7], 0.5
	s_delay_alu instid0(VALU_DEP_1) | instskip(SKIP_1) | instid1(VALU_DEP_2)
	v_fmac_f64_e32 v[6:7], v[6:7], v[8:9]
	v_fmac_f64_e32 v[4:5], v[4:5], v[8:9]
	v_fma_f64 v[8:9], -v[6:7], v[6:7], v[2:3]
	s_delay_alu instid0(VALU_DEP_1) | instskip(NEXT) | instid1(VALU_DEP_1)
	v_fmac_f64_e32 v[6:7], v[8:9], v[4:5]
	v_fma_f64 v[8:9], -v[6:7], v[6:7], v[2:3]
	s_delay_alu instid0(VALU_DEP_1) | instskip(SKIP_3) | instid1(VALU_DEP_3)
	v_fmac_f64_e32 v[6:7], v[8:9], v[4:5]
	s_wait_kmcnt 0x0
	v_mul_f64_e64 v[4:5], s[12:13], -0.5
	v_dual_mov_b32 v8, s10 :: v_dual_mov_b32 v9, s11
	v_ldexp_f64 v[6:7], v[6:7], s0
	s_delay_alu instid0(VALU_DEP_2) | instskip(NEXT) | instid1(VALU_DEP_2)
	v_fmac_f64_e32 v[8:9], s[12:13], v[4:5]
	v_dual_cndmask_b32 v5, v7, v3 :: v_dual_cndmask_b32 v4, v6, v2
	s_delay_alu instid0(VALU_DEP_2) | instskip(NEXT) | instid1(VALU_DEP_2)
	v_mul_f64_e32 v[2:3], s[6:7], v[8:9]
	v_mul_f64_e32 v[6:7], s[12:13], v[4:5]
	s_cbranch_scc1 .LBB0_4
; %bb.2:
	v_ashrrev_i32_e32 v1, 31, v0
	v_mov_b64_e32 v[10:11], 0x3e928af3fca7ab0c
	v_mov_b64_e32 v[4:5], s[8:9]
	s_ashr_i32 s7, s3, 31
	s_mov_b32 s6, s3
	v_lshlrev_b64_e32 v[8:9], 3, v[0:1]
	s_add_co_i32 s1, s2, -1
	s_lshl_b64 s[6:7], s[6:7], 3
                                        ; implicit-def: $vgpr12_vgpr13
                                        ; implicit-def: $vgpr12_vgpr13
	;; [unrolled: 1-line block ×8, first 2 shown]
.LBB0_3:                                ; =>This Inner Loop Header: Depth=1
	s_wait_xcnt 0x0
	s_delay_alu instid0(VALU_DEP_1)
	v_add_nc_u64_e32 v[12:13], s[14:15], v[8:9]
	v_add_nc_u32_e32 v0, s3, v0
	s_add_co_i32 s1, s1, -1
	global_load_b64 v[12:13], v[12:13], off
	s_wait_loadcnt 0x0
	s_wait_xcnt 0x0
	v_fma_f64 v[12:13], v[6:7], v[12:13], v[2:3]
	s_delay_alu instid0(VALU_DEP_1) | instskip(SKIP_2) | instid1(VALU_DEP_3)
	v_mul_f64_e32 v[14:15], 0x3ff71547652b82fe, v[12:13]
	v_cmp_nlt_f64_e32 vcc_lo, 0x40900000, v[12:13]
	v_cmp_ngt_f64_e64 s0, 0xc090cc00, v[12:13]
	v_rndne_f64_e32 v[14:15], v[14:15]
	s_delay_alu instid0(VALU_DEP_1) | instskip(SKIP_1) | instid1(VALU_DEP_2)
	v_fmamk_f64 v[16:17], v[14:15], 0xbfe62e42fefa39ef, v[12:13]
	v_cvt_i32_f64_e32 v1, v[14:15]
	v_fmac_f64_e32 v[16:17], 0xbc7abc9e3b39803f, v[14:15]
	s_delay_alu instid0(VALU_DEP_1) | instskip(NEXT) | instid1(VALU_DEP_1)
	v_fmamk_f64 v[18:19], v[16:17], 0x3e5ade156a5dcb37, v[10:11]
	v_fmaak_f64 v[18:19], v[16:17], v[18:19], 0x3ec71dee623fde64
	s_delay_alu instid0(VALU_DEP_1) | instskip(NEXT) | instid1(VALU_DEP_1)
	v_fmaak_f64 v[18:19], v[16:17], v[18:19], 0x3efa01997c89e6b0
	v_fmaak_f64 v[18:19], v[16:17], v[18:19], 0x3f2a01a014761f6e
	s_delay_alu instid0(VALU_DEP_1) | instskip(NEXT) | instid1(VALU_DEP_1)
	v_fmaak_f64 v[18:19], v[16:17], v[18:19], 0x3f56c16c1852b7b0
	;; [unrolled: 3-line block ×4, first 2 shown]
	v_fma_f64 v[18:19], v[16:17], v[18:19], 1.0
	s_delay_alu instid0(VALU_DEP_1) | instskip(NEXT) | instid1(VALU_DEP_1)
	v_fma_f64 v[14:15], v[16:17], v[18:19], 1.0
	v_ldexp_f64 v[14:15], v[14:15], v1
	s_delay_alu instid0(VALU_DEP_1) | instskip(SKIP_2) | instid1(VALU_DEP_1)
	v_cndmask_b32_e32 v1, 0x7ff00000, v15, vcc_lo
	s_and_b32 vcc_lo, s0, vcc_lo
	s_cmp_eq_u32 s1, 0
	v_dual_cndmask_b32 v12, 0, v14, vcc_lo :: v_dual_cndmask_b32 v13, 0, v1, s0
	s_delay_alu instid0(VALU_DEP_1)
	v_mul_f64_e32 v[4:5], v[4:5], v[12:13]
	v_add_nc_u64_e32 v[12:13], s[16:17], v[8:9]
	v_add_nc_u64_e32 v[8:9], s[6:7], v[8:9]
	global_store_b64 v[12:13], v[4:5], off
	s_cbranch_scc0 .LBB0_3
	s_branch .LBB0_5
.LBB0_4:
	v_mov_b64_e32 v[4:5], s[8:9]
.LBB0_5:
	global_load_b64 v[8:9], v0, s[14:15] scale_offset
	s_mov_b64 s[0:1], 0x3e5ade156a5dcb37
	s_wait_loadcnt 0x0
	v_fmac_f64_e32 v[2:3], v[6:7], v[8:9]
	s_delay_alu instid0(VALU_DEP_1) | instskip(SKIP_1) | instid1(VALU_DEP_2)
	v_mul_f64_e32 v[6:7], 0x3ff71547652b82fe, v[2:3]
	v_cmp_nlt_f64_e32 vcc_lo, 0x40900000, v[2:3]
	v_rndne_f64_e32 v[6:7], v[6:7]
	s_delay_alu instid0(VALU_DEP_1) | instskip(SKIP_1) | instid1(VALU_DEP_2)
	v_fmamk_f64 v[8:9], v[6:7], 0xbfe62e42fefa39ef, v[2:3]
	v_cvt_i32_f64_e32 v1, v[6:7]
	v_fmamk_f64 v[8:9], v[6:7], 0xbc7abc9e3b39803f, v[8:9]
	s_delay_alu instid0(VALU_DEP_1) | instskip(SKIP_1) | instid1(VALU_DEP_2)
	v_fmaak_f64 v[10:11], s[0:1], v[8:9], 0x3e928af3fca7ab0c
	v_cmp_ngt_f64_e64 s0, 0xc090cc00, v[2:3]
	v_fmaak_f64 v[10:11], v[8:9], v[10:11], 0x3ec71dee623fde64
	s_delay_alu instid0(VALU_DEP_1) | instskip(NEXT) | instid1(VALU_DEP_1)
	v_fmaak_f64 v[10:11], v[8:9], v[10:11], 0x3efa01997c89e6b0
	v_fmaak_f64 v[10:11], v[8:9], v[10:11], 0x3f2a01a014761f6e
	s_delay_alu instid0(VALU_DEP_1) | instskip(NEXT) | instid1(VALU_DEP_1)
	v_fmaak_f64 v[10:11], v[8:9], v[10:11], 0x3f56c16c1852b7b0
	;; [unrolled: 3-line block ×4, first 2 shown]
	v_fma_f64 v[10:11], v[8:9], v[10:11], 1.0
	s_delay_alu instid0(VALU_DEP_1) | instskip(NEXT) | instid1(VALU_DEP_1)
	v_fma_f64 v[6:7], v[8:9], v[10:11], 1.0
	v_ldexp_f64 v[6:7], v[6:7], v1
	s_delay_alu instid0(VALU_DEP_1)
	v_cndmask_b32_e32 v1, 0x7ff00000, v7, vcc_lo
	s_and_b32 vcc_lo, s0, vcc_lo
	s_delay_alu instid0(VALU_DEP_1) | instid1(SALU_CYCLE_1)
	v_dual_cndmask_b32 v2, 0, v6, vcc_lo :: v_dual_cndmask_b32 v3, 0, v1, s0
	s_delay_alu instid0(VALU_DEP_1) | instskip(NEXT) | instid1(VALU_DEP_1)
	v_fma_f64 v[2:3], -v[4:5], v[2:3], s[4:5]
	v_max_num_f64_e32 v[2:3], 0, v[2:3]
	global_store_b64 v0, v[2:3], s[16:17] scale_offset
.LBB0_6:
	s_endpgm
	.section	.rodata,"a",@progbits
	.p2align	6, 0x0
	.amdhsa_kernel _Z21generate_paths_kernelILi256E9PayoffPutEviiT0_ddddPKdPd
		.amdhsa_group_segment_fixed_size 0
		.amdhsa_private_segment_fixed_size 0
		.amdhsa_kernarg_size 64
		.amdhsa_user_sgpr_count 2
		.amdhsa_user_sgpr_dispatch_ptr 0
		.amdhsa_user_sgpr_queue_ptr 0
		.amdhsa_user_sgpr_kernarg_segment_ptr 1
		.amdhsa_user_sgpr_dispatch_id 0
		.amdhsa_user_sgpr_kernarg_preload_length 0
		.amdhsa_user_sgpr_kernarg_preload_offset 0
		.amdhsa_user_sgpr_private_segment_size 0
		.amdhsa_wavefront_size32 1
		.amdhsa_uses_dynamic_stack 0
		.amdhsa_enable_private_segment 0
		.amdhsa_system_sgpr_workgroup_id_x 1
		.amdhsa_system_sgpr_workgroup_id_y 0
		.amdhsa_system_sgpr_workgroup_id_z 0
		.amdhsa_system_sgpr_workgroup_info 0
		.amdhsa_system_vgpr_workitem_id 0
		.amdhsa_next_free_vgpr 20
		.amdhsa_next_free_sgpr 18
		.amdhsa_named_barrier_count 0
		.amdhsa_reserve_vcc 1
		.amdhsa_float_round_mode_32 0
		.amdhsa_float_round_mode_16_64 0
		.amdhsa_float_denorm_mode_32 3
		.amdhsa_float_denorm_mode_16_64 3
		.amdhsa_fp16_overflow 0
		.amdhsa_memory_ordered 1
		.amdhsa_forward_progress 1
		.amdhsa_inst_pref_size 8
		.amdhsa_round_robin_scheduling 0
		.amdhsa_exception_fp_ieee_invalid_op 0
		.amdhsa_exception_fp_denorm_src 0
		.amdhsa_exception_fp_ieee_div_zero 0
		.amdhsa_exception_fp_ieee_overflow 0
		.amdhsa_exception_fp_ieee_underflow 0
		.amdhsa_exception_fp_ieee_inexact 0
		.amdhsa_exception_int_div_zero 0
	.end_amdhsa_kernel
	.section	.text._Z21generate_paths_kernelILi256E9PayoffPutEviiT0_ddddPKdPd,"axG",@progbits,_Z21generate_paths_kernelILi256E9PayoffPutEviiT0_ddddPKdPd,comdat
.Lfunc_end0:
	.size	_Z21generate_paths_kernelILi256E9PayoffPutEviiT0_ddddPKdPd, .Lfunc_end0-_Z21generate_paths_kernelILi256E9PayoffPutEviiT0_ddddPKdPd
                                        ; -- End function
	.set _Z21generate_paths_kernelILi256E9PayoffPutEviiT0_ddddPKdPd.num_vgpr, 20
	.set _Z21generate_paths_kernelILi256E9PayoffPutEviiT0_ddddPKdPd.num_agpr, 0
	.set _Z21generate_paths_kernelILi256E9PayoffPutEviiT0_ddddPKdPd.numbered_sgpr, 18
	.set _Z21generate_paths_kernelILi256E9PayoffPutEviiT0_ddddPKdPd.num_named_barrier, 0
	.set _Z21generate_paths_kernelILi256E9PayoffPutEviiT0_ddddPKdPd.private_seg_size, 0
	.set _Z21generate_paths_kernelILi256E9PayoffPutEviiT0_ddddPKdPd.uses_vcc, 1
	.set _Z21generate_paths_kernelILi256E9PayoffPutEviiT0_ddddPKdPd.uses_flat_scratch, 0
	.set _Z21generate_paths_kernelILi256E9PayoffPutEviiT0_ddddPKdPd.has_dyn_sized_stack, 0
	.set _Z21generate_paths_kernelILi256E9PayoffPutEviiT0_ddddPKdPd.has_recursion, 0
	.set _Z21generate_paths_kernelILi256E9PayoffPutEviiT0_ddddPKdPd.has_indirect_call, 0
	.section	.AMDGPU.csdata,"",@progbits
; Kernel info:
; codeLenInByte = 1016
; TotalNumSgprs: 20
; NumVgprs: 20
; ScratchSize: 0
; MemoryBound: 0
; FloatMode: 240
; IeeeMode: 1
; LDSByteSize: 0 bytes/workgroup (compile time only)
; SGPRBlocks: 0
; VGPRBlocks: 1
; NumSGPRsForWavesPerEU: 20
; NumVGPRsForWavesPerEU: 20
; NamedBarCnt: 0
; Occupancy: 16
; WaveLimiterHint : 0
; COMPUTE_PGM_RSRC2:SCRATCH_EN: 0
; COMPUTE_PGM_RSRC2:USER_SGPR: 2
; COMPUTE_PGM_RSRC2:TRAP_HANDLER: 0
; COMPUTE_PGM_RSRC2:TGID_X_EN: 1
; COMPUTE_PGM_RSRC2:TGID_Y_EN: 0
; COMPUTE_PGM_RSRC2:TGID_Z_EN: 0
; COMPUTE_PGM_RSRC2:TIDIG_COMP_CNT: 0
	.section	.text._Z18prepare_svd_kernelILi256E9PayoffPutEviiT0_PKdPiPd,"axG",@progbits,_Z18prepare_svd_kernelILi256E9PayoffPutEviiT0_PKdPiPd,comdat
	.protected	_Z18prepare_svd_kernelILi256E9PayoffPutEviiT0_PKdPiPd ; -- Begin function _Z18prepare_svd_kernelILi256E9PayoffPutEviiT0_PKdPiPd
	.globl	_Z18prepare_svd_kernelILi256E9PayoffPutEviiT0_PKdPiPd
	.p2align	8
	.type	_Z18prepare_svd_kernelILi256E9PayoffPutEviiT0_PKdPiPd,@function
_Z18prepare_svd_kernelILi256E9PayoffPutEviiT0_PKdPiPd: ; @_Z18prepare_svd_kernelILi256E9PayoffPutEviiT0_PKdPiPd
; %bb.0:
	v_cmp_gt_u32_e64 s2, 12, v0
	s_and_saveexec_b32 s3, s2
; %bb.1:
	v_mov_b64_e32 v[2:3], 0
	v_lshlrev_b32_e32 v1, 3, v0
	ds_store_b64 v1, v[2:3] offset:2096
; %bb.2:
	s_or_b32 exec_lo, exec_lo, s3
	s_clause 0x1
	s_load_b64 s[12:13], s[0:1], 0x0
	s_load_b128 s[4:7], s[0:1], 0x18
	s_bfe_u32 s8, ttmp6, 0x4000c
	s_and_b32 s3, ttmp6, 15
	s_add_co_i32 s8, s8, 1
	v_mov_b64_e32 v[2:3], 0
	v_mov_b64_e32 v[4:5], 0
	s_mul_i32 s8, ttmp9, s8
	v_mov_b64_e32 v[6:7], 0
	v_mov_b64_e32 v[8:9], 0
	s_getreg_b32 s9, hwreg(HW_REG_IB_STS2, 6, 4)
	s_add_co_i32 s3, s3, s8
	v_mov_b32_e32 v1, 0
	s_cmp_eq_u32 s9, 0
	s_mov_b32 s14, 0
	s_cselect_b32 s3, ttmp9, s3
	s_mov_b32 s15, exec_lo
	s_wait_dscnt 0x0
	s_barrier_signal -1
	s_barrier_wait -1
	s_wait_kmcnt 0x0
	v_cmpx_gt_i32_e64 s12, v0
	s_cbranch_execz .LBB1_22
; %bb.3:
	s_load_b128 s[8:11], s[0:1], 0x8
	v_dual_mov_b32 v14, 0 :: v_dual_lshlrev_b32 v1, 2, v0
	v_mov_b64_e32 v[2:3], 0
	v_mov_b64_e32 v[4:5], 0
	;; [unrolled: 1-line block ×4, first 2 shown]
	v_add_nc_u32_e32 v12, 0x430, v1
	s_wait_xcnt 0x0
	v_cmp_eq_u32_e64 s0, 0, v0
	v_dual_add_nc_u32 v13, 32, v1 :: v_dual_mov_b32 v15, 0
	v_dual_mov_b32 v1, 0 :: v_dual_mov_b32 v16, v0
	s_mul_i32 s16, s12, s3
	s_branch .LBB1_5
.LBB1_4:                                ;   in Loop: Header=BB1_5 Depth=1
	v_add_nc_u32_e32 v16, 0x100, v16
	s_delay_alu instid0(VALU_DEP_1) | instskip(SKIP_1) | instid1(SALU_CYCLE_1)
	v_cmp_le_i32_e32 vcc_lo, s12, v16
	s_or_b32 s14, vcc_lo, s14
	s_and_not1_b32 exec_lo, exec_lo, s14
	s_cbranch_execz .LBB1_21
.LBB1_5:                                ; =>This Loop Header: Depth=1
                                        ;     Child Loop BB1_7 Depth 2
                                        ;     Child Loop BB1_16 Depth 2
	s_delay_alu instid0(VALU_DEP_1) | instskip(SKIP_4) | instid1(VALU_DEP_1)
	v_add_nc_u32_e32 v10, s16, v16
	s_wait_kmcnt 0x0
	global_load_b64 v[10:11], v10, s[10:11] scale_offset
	s_wait_loadcnt 0x0
	v_cmp_gt_f64_e64 s1, s[8:9], v[10:11]
	v_cndmask_b32_e64 v17, 0, 1, s1
	ds_store_b32 v12, v17
	s_wait_dscnt 0x0
	s_barrier_signal -1
	s_barrier_wait -1
	s_and_saveexec_b32 s17, s0
	s_cbranch_execz .LBB1_8
; %bb.6:                                ;   in Loop: Header=BB1_5 Depth=1
	v_mov_b32_e32 v18, 0
	s_mov_b32 s18, 0
	ds_store_b32 v14, v14 offset:32
.LBB1_7:                                ;   Parent Loop BB1_5 Depth=1
                                        ; =>  This Inner Loop Header: Depth=2
	s_add_co_i32 s19, s18, 0x430
	s_add_co_i32 s20, s18, 0x448
	s_delay_alu instid0(SALU_CYCLE_1)
	v_dual_mov_b32 v19, s19 :: v_dual_mov_b32 v26, s20
	s_add_co_i32 s19, s18, 0x438
	s_add_co_i32 s20, s18, 0x468
	ds_load_2addr_b32 v[20:21], v19 offset1:1
	v_mov_b32_e32 v19, s19
	s_add_co_i32 s19, s18, 0x440
	s_wait_dscnt 0x0
	v_add_nc_u32_e32 v28, v20, v18
	ds_load_2addr_b32 v[22:23], v19 offset1:1
	v_mov_b32_e32 v19, s19
	s_add_co_i32 s19, s18, 0x450
	v_add_nc_u32_e32 v29, v21, v28
	ds_load_2addr_b32 v[24:25], v19 offset1:1
	ds_load_2addr_b32 v[26:27], v26 offset1:1
	v_mov_b32_e32 v18, s19
	s_add_co_i32 s19, s18, 0x458
	s_delay_alu instid0(SALU_CYCLE_1)
	v_mov_b32_e32 v20, s19
	s_add_co_i32 s19, s18, 0x460
	ds_load_2addr_b32 v[18:19], v18 offset1:1
	ds_load_2addr_b32 v[20:21], v20 offset1:1
	s_wait_dscnt 0x4
	v_dual_add_nc_u32 v30, v22, v29 :: v_dual_mov_b32 v22, s19
	s_delay_alu instid0(VALU_DEP_1) | instskip(SKIP_1) | instid1(VALU_DEP_1)
	v_add_nc_u32_e32 v31, v23, v30
	s_wait_dscnt 0x3
	v_add_nc_u32_e32 v32, v24, v31
	s_delay_alu instid0(VALU_DEP_1) | instskip(SKIP_1) | instid1(VALU_DEP_1)
	v_add_nc_u32_e32 v33, v25, v32
	s_wait_dscnt 0x2
	v_dual_add_nc_u32 v26, v26, v33 :: v_dual_mov_b32 v24, s20
	s_delay_alu instid0(VALU_DEP_1) | instskip(SKIP_4) | instid1(VALU_DEP_1)
	v_add_nc_u32_e32 v27, v27, v26
	ds_load_2addr_b32 v[22:23], v22 offset1:1
	ds_load_2addr_b32 v[24:25], v24 offset1:1
	s_wait_dscnt 0x3
	v_add_nc_u32_e32 v34, v18, v27
	v_add_nc_u32_e32 v19, v19, v34
	s_wait_dscnt 0x2
	s_delay_alu instid0(VALU_DEP_1) | instskip(NEXT) | instid1(VALU_DEP_1)
	v_add_nc_u32_e32 v20, v20, v19
	v_add_nc_u32_e32 v21, v21, v20
	s_wait_dscnt 0x1
	s_delay_alu instid0(VALU_DEP_1) | instskip(NEXT) | instid1(VALU_DEP_1)
	v_add_nc_u32_e32 v22, v22, v21
	v_dual_add_nc_u32 v23, v23, v22 :: v_dual_mov_b32 v35, s18
	s_add_co_i32 s18, s18, 64
	s_delay_alu instid0(SALU_CYCLE_1) | instskip(SKIP_1) | instid1(VALU_DEP_1)
	s_cmp_lg_u32 s18, 0x400
	s_wait_dscnt 0x0
	v_add_nc_u32_e32 v24, v24, v23
	ds_store_2addr_b32 v35, v28, v29 offset0:9 offset1:10
	ds_store_2addr_b32 v35, v30, v31 offset0:11 offset1:12
	;; [unrolled: 1-line block ×3, first 2 shown]
	v_add_nc_u32_e32 v18, v25, v24
	ds_store_2addr_b32 v35, v26, v27 offset0:15 offset1:16
	ds_store_2addr_b32 v35, v34, v19 offset0:17 offset1:18
	;; [unrolled: 1-line block ×5, first 2 shown]
	s_cbranch_scc1 .LBB1_7
.LBB1_8:                                ;   in Loop: Header=BB1_5 Depth=1
	s_or_b32 exec_lo, exec_lo, s17
	v_cmp_lt_i32_e32 vcc_lo, 2, v15
	s_wait_dscnt 0x0
	s_barrier_signal -1
	s_barrier_wait -1
	s_cbranch_vccnz .LBB1_13
; %bb.9:                                ;   in Loop: Header=BB1_5 Depth=1
	ds_load_b32 v18, v14 offset:1056
	s_and_saveexec_b32 s17, s1
	s_cbranch_execz .LBB1_12
; %bb.10:                               ;   in Loop: Header=BB1_5 Depth=1
	ds_load_b32 v19, v13
	s_wait_dscnt 0x0
	v_add_nc_u32_e32 v19, v19, v15
	s_delay_alu instid0(VALU_DEP_1)
	v_cmp_gt_i32_e32 vcc_lo, 3, v19
	s_and_b32 exec_lo, exec_lo, vcc_lo
; %bb.11:                               ;   in Loop: Header=BB1_5 Depth=1
	v_lshlrev_b32_e32 v19, 3, v19
	ds_store_b64 v19, v[10:11] offset:2096
.LBB1_12:                               ;   in Loop: Header=BB1_5 Depth=1
	s_or_b32 exec_lo, exec_lo, s17
	s_wait_dscnt 0x0
	v_add_nc_u32_e32 v15, v18, v15
	s_barrier_signal -1
	s_barrier_wait -1
.LBB1_13:                               ;   in Loop: Header=BB1_5 Depth=1
	s_and_saveexec_b32 s17, s0
; %bb.14:                               ;   in Loop: Header=BB1_5 Depth=1
	ds_store_b32 v14, v14 offset:1060
; %bb.15:                               ;   in Loop: Header=BB1_5 Depth=1
	s_or_b32 exec_lo, exec_lo, s17
	s_delay_alu instid0(SALU_CYCLE_1)
	s_mov_b32 s18, exec_lo
	s_mov_b32 s17, 0
	s_wait_dscnt 0x0
	s_barrier_signal -1
	s_barrier_wait -1
.LBB1_16:                               ;   Parent Loop BB1_5 Depth=1
                                        ; =>  This Inner Loop Header: Depth=2
	s_ctz_i32_b32 s19, s18
	s_delay_alu instid0(SALU_CYCLE_1) | instskip(SKIP_1) | instid1(SALU_CYCLE_1)
	v_readlane_b32 s20, v17, s19
	s_lshl_b32 s19, 1, s19
	s_and_not1_b32 s18, s18, s19
	s_or_b32 s17, s17, s20
	s_cmp_lg_u32 s18, 0
	s_cbranch_scc1 .LBB1_16
; %bb.17:                               ;   in Loop: Header=BB1_5 Depth=1
	v_mbcnt_lo_u32_b32 v18, exec_lo, 0
	s_mov_b32 s18, exec_lo
	s_delay_alu instid0(VALU_DEP_1)
	v_cmpx_eq_u32_e32 0, v18
	s_xor_b32 s18, exec_lo, s18
; %bb.18:                               ;   in Loop: Header=BB1_5 Depth=1
	v_mov_b32_e32 v18, s17
	ds_or_b32 v14, v18 offset:1060
; %bb.19:                               ;   in Loop: Header=BB1_5 Depth=1
	s_or_b32 exec_lo, exec_lo, s18
	s_wait_dscnt 0x0
	s_barrier_signal -1
	s_barrier_wait -1
	ds_load_b32 v18, v14 offset:1060
	s_wait_dscnt 0x0
	v_cmp_eq_u32_e32 vcc_lo, 0, v18
	s_cbranch_vccnz .LBB1_4
; %bb.20:                               ;   in Loop: Header=BB1_5 Depth=1
	v_dual_mul_f64 v[18:19], v[10:11], v[10:11] :: v_dual_add_nc_u32 v1, v1, v17
	v_dual_cndmask_b32 v11, 0, v11, s1 :: v_dual_cndmask_b32 v10, 0, v10, s1
	s_delay_alu instid0(VALU_DEP_1) | instskip(NEXT) | instid1(VALU_DEP_3)
	v_add_f64_e32 v[8:9], v[8:9], v[10:11]
	v_dual_cndmask_b32 v19, 0, v19, s1 :: v_dual_cndmask_b32 v18, 0, v18, s1
	s_delay_alu instid0(VALU_DEP_1)
	v_add_f64_e32 v[6:7], v[6:7], v[18:19]
	v_fmac_f64_e32 v[4:5], v[18:19], v[10:11]
	v_fmac_f64_e32 v[2:3], v[18:19], v[18:19]
	s_branch .LBB1_4
.LBB1_21:
	s_or_b32 exec_lo, exec_lo, s14
.LBB1_22:
	s_delay_alu instid0(SALU_CYCLE_1)
	s_or_b32 exec_lo, exec_lo, s15
	v_cmp_eq_u32_e32 vcc_lo, 0, v0
	s_mov_b32 s1, 0
	s_barrier_signal -1
	s_barrier_wait -1
	s_and_saveexec_b32 s0, vcc_lo
; %bb.23:
	v_mov_b32_e32 v10, 0
	ds_store_b32 v10, v10 offset:1060
; %bb.24:
	s_or_b32 exec_lo, exec_lo, s0
	s_delay_alu instid0(SALU_CYCLE_1)
	s_mov_b32 s0, exec_lo
	s_wait_dscnt 0x0
	s_barrier_signal -1
	s_barrier_wait -1
.LBB1_25:                               ; =>This Inner Loop Header: Depth=1
	s_ctz_i32_b32 s8, s0
	s_delay_alu instid0(SALU_CYCLE_1) | instskip(SKIP_1) | instid1(SALU_CYCLE_1)
	v_readlane_b32 s9, v1, s8
	s_lshl_b32 s8, 1, s8
	s_and_not1_b32 s0, s0, s8
	s_add_co_i32 s1, s1, s9
	s_cmp_lg_u32 s0, 0
	s_cbranch_scc1 .LBB1_25
; %bb.26:
	v_mbcnt_lo_u32_b32 v1, exec_lo, 0
	s_delay_alu instid0(VALU_DEP_1) | instskip(SKIP_1) | instid1(SALU_CYCLE_1)
	v_cmp_eq_u32_e64 s0, 0, v1
	s_and_saveexec_b32 s8, s0
	s_xor_b32 s0, exec_lo, s8
; %bb.27:
	v_dual_mov_b32 v1, 0 :: v_dual_mov_b32 v10, s1
	ds_add_u32 v1, v10 offset:1060
; %bb.28:
	s_or_b32 exec_lo, exec_lo, s0
	v_mov_b32_e32 v1, 0
	s_wait_dscnt 0x0
	s_barrier_signal -1
	s_barrier_wait -1
	ds_load_b32 v1, v1 offset:1060
	s_wait_dscnt 0x0
	v_readfirstlane_b32 s0, v1
	s_cmp_ge_i32 s0, s13
	s_cselect_b32 s0, -1, 0
	s_xor_b32 s1, vcc_lo, -1
	s_delay_alu instid0(SALU_CYCLE_1) | instskip(NEXT) | instid1(SALU_CYCLE_1)
	s_or_b32 s0, s1, s0
	s_and_saveexec_b32 s1, s0
	s_delay_alu instid0(SALU_CYCLE_1)
	s_xor_b32 s12, exec_lo, s1
	s_cbranch_execnz .LBB1_31
; %bb.29:
	s_and_not1_saveexec_b32 s0, s12
	s_cbranch_execnz .LBB1_84
.LBB1_30:
	s_sendmsg sendmsg(MSG_DEALLOC_VGPRS)
	s_endpgm
.LBB1_31:
	s_and_saveexec_b32 s0, vcc_lo
	s_cbranch_execz .LBB1_33
; %bb.32:
	s_mov_b32 s8, 0
	v_mov_b32_e32 v1, 0
	s_mov_b32 s10, s8
	s_mov_b32 s11, s8
	s_mov_b32 s9, s8
	v_mov_b64_e32 v[12:13], s[10:11]
	v_mov_b64_e32 v[10:11], s[8:9]
	ds_store_b128 v1, v[10:13]
	ds_store_b128 v1, v[10:13] offset:16
.LBB1_33:
	s_or_b32 exec_lo, exec_lo, s0
	v_mov_b64_e32 v[10:11], 0x8000000000000000
	s_mov_b32 s0, exec_lo
	s_wait_dscnt 0x0
	s_barrier_signal -1
	s_barrier_wait -1
.LBB1_34:                               ; =>This Inner Loop Header: Depth=1
	s_ctz_i32_b32 s1, s0
	s_delay_alu instid0(SALU_CYCLE_1) | instskip(SKIP_2) | instid1(SALU_CYCLE_1)
	v_readlane_b32 s9, v9, s1
	v_readlane_b32 s8, v8, s1
	s_lshl_b32 s1, 1, s1
	s_and_not1_b32 s0, s0, s1
	v_add_f64_e32 v[10:11], s[8:9], v[10:11]
	s_cmp_lg_u32 s0, 0
	s_cbranch_scc1 .LBB1_34
; %bb.35:
	v_mbcnt_lo_u32_b32 v1, exec_lo, 0
	s_delay_alu instid0(VALU_DEP_1) | instskip(SKIP_1) | instid1(SALU_CYCLE_1)
	v_cmp_eq_u32_e64 s0, 0, v1
	s_and_saveexec_b32 s1, s0
	s_xor_b32 s0, exec_lo, s1
; %bb.36:
	v_mov_b32_e32 v1, 0
	ds_add_f64 v1, v[10:11]
; %bb.37:
	s_or_b32 exec_lo, exec_lo, s0
	v_mov_b64_e32 v[8:9], 0x8000000000000000
	s_mov_b32 s0, exec_lo
.LBB1_38:                               ; =>This Inner Loop Header: Depth=1
	s_delay_alu instid0(SALU_CYCLE_1) | instskip(NEXT) | instid1(SALU_CYCLE_1)
	s_ctz_i32_b32 s1, s0
	v_readlane_b32 s9, v7, s1
	v_readlane_b32 s8, v6, s1
	s_lshl_b32 s1, 1, s1
	s_delay_alu instid0(SALU_CYCLE_1)
	s_and_not1_b32 s0, s0, s1
	v_add_f64_e32 v[8:9], s[8:9], v[8:9]
	s_cmp_lg_u32 s0, 0
	s_cbranch_scc1 .LBB1_38
; %bb.39:
	v_mbcnt_lo_u32_b32 v1, exec_lo, 0
	s_delay_alu instid0(VALU_DEP_1) | instskip(SKIP_1) | instid1(SALU_CYCLE_1)
	v_cmp_eq_u32_e64 s0, 0, v1
	s_and_saveexec_b32 s1, s0
	s_xor_b32 s0, exec_lo, s1
; %bb.40:
	v_mov_b32_e32 v1, 0
	ds_add_f64 v1, v[8:9] offset:8
; %bb.41:
	s_or_b32 exec_lo, exec_lo, s0
	v_mov_b64_e32 v[6:7], 0x8000000000000000
	s_mov_b32 s0, exec_lo
.LBB1_42:                               ; =>This Inner Loop Header: Depth=1
	s_delay_alu instid0(SALU_CYCLE_1) | instskip(NEXT) | instid1(SALU_CYCLE_1)
	s_ctz_i32_b32 s1, s0
	v_readlane_b32 s9, v5, s1
	v_readlane_b32 s8, v4, s1
	s_lshl_b32 s1, 1, s1
	s_delay_alu instid0(SALU_CYCLE_1)
	s_and_not1_b32 s0, s0, s1
	v_add_f64_e32 v[6:7], s[8:9], v[6:7]
	s_cmp_lg_u32 s0, 0
	s_cbranch_scc1 .LBB1_42
; %bb.43:
	v_mbcnt_lo_u32_b32 v1, exec_lo, 0
	s_delay_alu instid0(VALU_DEP_1) | instskip(SKIP_1) | instid1(SALU_CYCLE_1)
	v_cmp_eq_u32_e64 s0, 0, v1
	s_and_saveexec_b32 s1, s0
	s_xor_b32 s0, exec_lo, s1
; %bb.44:
	v_mov_b32_e32 v1, 0
	ds_add_f64 v1, v[6:7] offset:16
; %bb.45:
	s_or_b32 exec_lo, exec_lo, s0
	v_mov_b64_e32 v[4:5], 0x8000000000000000
	s_mov_b32 s0, exec_lo
.LBB1_46:                               ; =>This Inner Loop Header: Depth=1
	s_delay_alu instid0(SALU_CYCLE_1) | instskip(NEXT) | instid1(SALU_CYCLE_1)
	s_ctz_i32_b32 s1, s0
	v_readlane_b32 s9, v3, s1
	v_readlane_b32 s8, v2, s1
	s_lshl_b32 s1, 1, s1
	s_delay_alu instid0(SALU_CYCLE_1)
	s_and_not1_b32 s0, s0, s1
	v_add_f64_e32 v[4:5], s[8:9], v[4:5]
	s_cmp_lg_u32 s0, 0
	s_cbranch_scc1 .LBB1_46
; %bb.47:
	v_mbcnt_lo_u32_b32 v1, exec_lo, 0
	s_delay_alu instid0(VALU_DEP_1) | instskip(SKIP_1) | instid1(SALU_CYCLE_1)
	v_cmp_eq_u32_e64 s0, 0, v1
	s_and_saveexec_b32 s1, s0
	s_xor_b32 s0, exec_lo, s1
; %bb.48:
	v_mov_b32_e32 v1, 0
	ds_add_f64 v1, v[4:5] offset:24
; %bb.49:
	s_or_b32 exec_lo, exec_lo, s0
	s_wait_dscnt 0x0
	s_barrier_signal -1
	s_barrier_wait -1
	s_and_saveexec_b32 s13, vcc_lo
	s_cbranch_execz .LBB1_81
; %bb.50:
	v_mov_b32_e32 v1, 0
	v_mov_b64_e32 v[44:45], 0
	ds_load_b32 v2, v1 offset:1060
	ds_load_b128 v[6:9], v1 offset:2096
	s_wait_dscnt 0x1
	v_cvt_f64_i32_e32 v[18:19], v2
	s_wait_dscnt 0x0
	v_mul_f64_e32 v[34:35], v[6:7], v[6:7]
	s_delay_alu instid0(VALU_DEP_2) | instskip(SKIP_2) | instid1(SALU_CYCLE_1)
	v_cmp_gt_f64_e32 vcc_lo, 0x10000000, v[18:19]
	s_and_b32 s0, vcc_lo, exec_lo
	s_cselect_b32 s0, 0x100, 0
	v_ldexp_f64 v[2:3], v[18:19], s0
	s_cselect_b32 s0, 0xffffff80, 0
	s_delay_alu instid0(VALU_DEP_1) | instskip(SKIP_1) | instid1(TRANS32_DEP_1)
	v_rsq_f64_e32 v[4:5], v[2:3]
	v_cmp_class_f64_e64 vcc_lo, v[2:3], 0x260
	v_mul_f64_e32 v[10:11], v[2:3], v[4:5]
	v_mul_f64_e32 v[4:5], 0.5, v[4:5]
	s_delay_alu instid0(VALU_DEP_1) | instskip(NEXT) | instid1(VALU_DEP_1)
	v_fma_f64 v[12:13], -v[4:5], v[10:11], 0.5
	v_fmac_f64_e32 v[10:11], v[10:11], v[12:13]
	v_fmac_f64_e32 v[4:5], v[4:5], v[12:13]
	s_delay_alu instid0(VALU_DEP_2) | instskip(NEXT) | instid1(VALU_DEP_1)
	v_fma_f64 v[12:13], -v[10:11], v[10:11], v[2:3]
	v_fmac_f64_e32 v[10:11], v[12:13], v[4:5]
	s_delay_alu instid0(VALU_DEP_1) | instskip(NEXT) | instid1(VALU_DEP_1)
	v_fma_f64 v[12:13], -v[10:11], v[10:11], v[2:3]
	v_fmac_f64_e32 v[10:11], v[12:13], v[4:5]
	s_delay_alu instid0(VALU_DEP_1) | instskip(NEXT) | instid1(VALU_DEP_1)
	v_ldexp_f64 v[4:5], v[10:11], s0
	v_dual_cndmask_b32 v3, v5, v3 :: v_dual_cndmask_b32 v2, v4, v2
	v_add_f64_e32 v[4:5], -1.0, v[18:19]
	s_delay_alu instid0(VALU_DEP_2) | instskip(NEXT) | instid1(VALU_DEP_1)
	v_add_f64_e32 v[10:11], 1.0, v[2:3]
	v_div_scale_f64 v[12:13], null, v[10:11], v[10:11], -v[4:5]
	v_div_scale_f64 v[20:21], vcc_lo, -v[4:5], v[10:11], -v[4:5]
	s_delay_alu instid0(VALU_DEP_2) | instskip(SKIP_1) | instid1(TRANS32_DEP_1)
	v_rcp_f64_e32 v[14:15], v[12:13]
	v_nop
	v_fma_f64 v[16:17], -v[12:13], v[14:15], 1.0
	s_delay_alu instid0(VALU_DEP_1) | instskip(NEXT) | instid1(VALU_DEP_1)
	v_fmac_f64_e32 v[14:15], v[14:15], v[16:17]
	v_fma_f64 v[16:17], -v[12:13], v[14:15], 1.0
	s_delay_alu instid0(VALU_DEP_1) | instskip(NEXT) | instid1(VALU_DEP_1)
	v_fmac_f64_e32 v[14:15], v[14:15], v[16:17]
	v_mul_f64_e32 v[16:17], v[20:21], v[14:15]
	s_delay_alu instid0(VALU_DEP_1) | instskip(NEXT) | instid1(VALU_DEP_1)
	v_fma_f64 v[12:13], -v[12:13], v[16:17], v[20:21]
	v_div_fmas_f64 v[12:13], v[12:13], v[14:15], v[16:17]
	s_delay_alu instid0(VALU_DEP_1) | instskip(NEXT) | instid1(VALU_DEP_1)
	v_div_fixup_f64 v[16:17], v[12:13], v[10:11], -v[4:5]
	v_mul_f64_e32 v[10:11], v[16:17], v[16:17]
	v_fmac_f64_e32 v[4:5], v[16:17], v[16:17]
	v_div_scale_f64 v[14:15], null, v[16:17], v[16:17], 1.0
	s_delay_alu instid0(VALU_DEP_3) | instskip(NEXT) | instid1(VALU_DEP_2)
	v_add_f64_e32 v[10:11], v[10:11], v[10:11]
	v_rcp_f64_e32 v[22:23], v[14:15]
	s_delay_alu instid0(VALU_DEP_1) | instskip(SKIP_1) | instid1(TRANS32_DEP_1)
	v_div_scale_f64 v[12:13], null, v[4:5], v[4:5], v[10:11]
	v_div_scale_f64 v[28:29], vcc_lo, v[10:11], v[4:5], v[10:11]
	v_fma_f64 v[26:27], -v[14:15], v[22:23], 1.0
	s_delay_alu instid0(VALU_DEP_3) | instskip(NEXT) | instid1(VALU_DEP_1)
	v_rcp_f64_e32 v[20:21], v[12:13]
	v_fmac_f64_e32 v[22:23], v[22:23], v[26:27]
	s_delay_alu instid0(TRANS32_DEP_1) | instskip(NEXT) | instid1(VALU_DEP_2)
	v_fma_f64 v[24:25], -v[12:13], v[20:21], 1.0
	v_fma_f64 v[26:27], -v[14:15], v[22:23], 1.0
	s_delay_alu instid0(VALU_DEP_2) | instskip(NEXT) | instid1(VALU_DEP_2)
	v_fmac_f64_e32 v[20:21], v[20:21], v[24:25]
	v_fmac_f64_e32 v[22:23], v[22:23], v[26:27]
	s_delay_alu instid0(VALU_DEP_2) | instskip(NEXT) | instid1(VALU_DEP_1)
	v_fma_f64 v[24:25], -v[12:13], v[20:21], 1.0
	v_fmac_f64_e32 v[20:21], v[20:21], v[24:25]
	v_div_scale_f64 v[24:25], s0, 1.0, v[16:17], 1.0
	s_delay_alu instid0(VALU_DEP_2) | instskip(NEXT) | instid1(VALU_DEP_2)
	v_mul_f64_e32 v[26:27], v[28:29], v[20:21]
	v_mul_f64_e32 v[30:31], v[24:25], v[22:23]
	s_delay_alu instid0(VALU_DEP_2) | instskip(NEXT) | instid1(VALU_DEP_2)
	v_fma_f64 v[12:13], -v[12:13], v[26:27], v[28:29]
	v_fma_f64 v[14:15], -v[14:15], v[30:31], v[24:25]
	s_delay_alu instid0(VALU_DEP_2) | instskip(SKIP_2) | instid1(VALU_DEP_2)
	v_div_fmas_f64 v[12:13], v[12:13], v[20:21], v[26:27]
	s_mov_b32 vcc_lo, s0
	s_mov_b64 s[0:1], 0x3c9cd2b297d889bc
	v_div_fmas_f64 v[14:15], v[14:15], v[22:23], v[30:31]
	s_delay_alu instid0(VALU_DEP_2)
	v_div_fixup_f64 v[4:5], v[12:13], v[4:5], v[10:11]
	ds_load_b128 v[20:23], v1
	ds_load_b128 v[10:13], v1 offset:16
	ds_load_b64 v[28:29], v1 offset:2112
	v_div_fixup_f64 v[42:43], v[14:15], v[16:17], 1.0
	s_wait_dscnt 0x2
	v_add_f64_e64 v[14:15], v[20:21], -v[6:7]
	v_fma_f64 v[40:41], -v[6:7], v[6:7], v[22:23]
	v_add_f64_e32 v[20:21], -2.0, v[18:19]
	s_delay_alu instid0(VALU_DEP_4) | instskip(NEXT) | instid1(VALU_DEP_4)
	v_mul_f64_e32 v[32:33], v[42:43], v[4:5]
	v_add_f64_e64 v[22:23], v[14:15], -v[8:9]
	s_delay_alu instid0(VALU_DEP_4) | instskip(NEXT) | instid1(VALU_DEP_3)
	v_fma_f64 v[26:27], -v[8:9], v[8:9], v[40:41]
	v_mul_f64_e32 v[36:37], v[42:43], v[32:33]
	s_delay_alu instid0(VALU_DEP_1) | instskip(NEXT) | instid1(VALU_DEP_1)
	v_mul_f64_e32 v[30:31], v[14:15], v[36:37]
	v_fmac_f64_e32 v[30:31], v[6:7], v[32:33]
	s_delay_alu instid0(VALU_DEP_1) | instskip(SKIP_1) | instid1(VALU_DEP_2)
	v_add_f64_e32 v[24:25], v[30:31], v[30:31]
	v_mul_f64_e32 v[38:39], v[20:21], v[30:31]
	v_fma_f64 v[20:21], -v[22:23], v[24:25], v[26:27]
	v_add_f64_e64 v[24:25], -v[4:5], 1.0
	v_mul_f64_e32 v[4:5], v[14:15], v[32:33]
	v_mul_f64_e32 v[14:15], v[40:41], v[32:33]
	s_delay_alu instid0(VALU_DEP_4) | instskip(NEXT) | instid1(VALU_DEP_3)
	v_fmac_f64_e32 v[20:21], v[30:31], v[38:39]
	v_fma_f64 v[4:5], v[6:7], v[24:25], -v[4:5]
	s_delay_alu instid0(VALU_DEP_3)
	v_fma_f64 v[14:15], v[34:35], v[24:25], -v[14:15]
	v_add_f64_e64 v[24:25], v[8:9], -v[30:31]
	ds_store_b128 v1, v[2:5] offset:2096
	ds_store_b64 v1, v[14:15] offset:2112
	v_cmp_lt_f64_e64 s0, |v[20:21]|, s[0:1]
	s_and_b32 vcc_lo, exec_lo, s0
	s_cbranch_vccnz .LBB1_56
; %bb.51:
	v_fma_f64 v[16:17], v[24:25], v[24:25], v[20:21]
	s_delay_alu instid0(VALU_DEP_1) | instskip(SKIP_2) | instid1(SALU_CYCLE_1)
	v_cmp_gt_f64_e32 vcc_lo, 0x10000000, v[16:17]
	s_and_b32 s0, vcc_lo, exec_lo
	s_cselect_b32 s0, 0x100, 0
	v_ldexp_f64 v[16:17], v[16:17], s0
	s_cselect_b32 s0, 0xffffff80, 0
	s_delay_alu instid0(VALU_DEP_1) | instskip(SKIP_1) | instid1(TRANS32_DEP_1)
	v_rsq_f64_e32 v[42:43], v[16:17]
	v_cmp_class_f64_e64 vcc_lo, v[16:17], 0x260
	v_mul_f64_e32 v[44:45], v[16:17], v[42:43]
	v_mul_f64_e32 v[42:43], 0.5, v[42:43]
	s_delay_alu instid0(VALU_DEP_1) | instskip(NEXT) | instid1(VALU_DEP_1)
	v_fma_f64 v[46:47], -v[42:43], v[44:45], 0.5
	v_fmac_f64_e32 v[44:45], v[44:45], v[46:47]
	v_fmac_f64_e32 v[42:43], v[42:43], v[46:47]
	s_delay_alu instid0(VALU_DEP_2) | instskip(NEXT) | instid1(VALU_DEP_1)
	v_fma_f64 v[46:47], -v[44:45], v[44:45], v[16:17]
	v_fmac_f64_e32 v[44:45], v[46:47], v[42:43]
	s_delay_alu instid0(VALU_DEP_1) | instskip(NEXT) | instid1(VALU_DEP_1)
	v_fma_f64 v[46:47], -v[44:45], v[44:45], v[16:17]
	v_fmac_f64_e32 v[44:45], v[46:47], v[42:43]
	s_delay_alu instid0(VALU_DEP_1) | instskip(SKIP_1) | instid1(VALU_DEP_2)
	v_ldexp_f64 v[42:43], v[44:45], s0
	v_cmp_nge_f64_e64 s0, 0, v[24:25]
	v_dual_cndmask_b32 v43, v43, v17 :: v_dual_cndmask_b32 v42, v42, v16
	s_and_b32 vcc_lo, exec_lo, s0
	s_cbranch_vccnz .LBB1_53
; %bb.52:
	s_delay_alu instid0(VALU_DEP_1)
	v_add_f64_e64 v[16:17], v[24:25], -v[42:43]
	s_cbranch_execz .LBB1_54
	s_branch .LBB1_55
.LBB1_53:
                                        ; implicit-def: $vgpr16_vgpr17
.LBB1_54:
	s_delay_alu instid0(VALU_DEP_1) | instskip(NEXT) | instid1(VALU_DEP_1)
	v_add_f64_e32 v[16:17], v[24:25], v[42:43]
	v_div_scale_f64 v[42:43], null, v[16:17], v[16:17], -v[20:21]
	s_delay_alu instid0(VALU_DEP_1) | instskip(SKIP_1) | instid1(TRANS32_DEP_1)
	v_rcp_f64_e32 v[44:45], v[42:43]
	v_nop
	v_fma_f64 v[46:47], -v[42:43], v[44:45], 1.0
	s_delay_alu instid0(VALU_DEP_1) | instskip(NEXT) | instid1(VALU_DEP_1)
	v_fmac_f64_e32 v[44:45], v[44:45], v[46:47]
	v_fma_f64 v[46:47], -v[42:43], v[44:45], 1.0
	s_delay_alu instid0(VALU_DEP_1) | instskip(SKIP_1) | instid1(VALU_DEP_1)
	v_fmac_f64_e32 v[44:45], v[44:45], v[46:47]
	v_div_scale_f64 v[46:47], vcc_lo, -v[20:21], v[16:17], -v[20:21]
	v_mul_f64_e32 v[48:49], v[46:47], v[44:45]
	s_delay_alu instid0(VALU_DEP_1) | instskip(NEXT) | instid1(VALU_DEP_1)
	v_fma_f64 v[42:43], -v[42:43], v[48:49], v[46:47]
	v_div_fmas_f64 v[42:43], v[42:43], v[44:45], v[48:49]
	s_delay_alu instid0(VALU_DEP_1)
	v_div_fixup_f64 v[16:17], v[42:43], v[16:17], -v[20:21]
.LBB1_55:
	s_delay_alu instid0(VALU_DEP_1) | instskip(SKIP_2) | instid1(VALU_DEP_3)
	v_mul_f64_e32 v[42:43], v[16:17], v[16:17]
	v_fma_f64 v[44:45], v[16:17], v[16:17], v[20:21]
	v_div_scale_f64 v[48:49], null, v[16:17], v[16:17], 1.0
	v_add_f64_e32 v[42:43], v[42:43], v[42:43]
	s_delay_alu instid0(VALU_DEP_2) | instskip(NEXT) | instid1(VALU_DEP_1)
	v_rcp_f64_e32 v[52:53], v[48:49]
	v_div_scale_f64 v[46:47], null, v[44:45], v[44:45], v[42:43]
	v_div_scale_f64 v[58:59], vcc_lo, v[42:43], v[44:45], v[42:43]
	s_delay_alu instid0(TRANS32_DEP_1) | instskip(NEXT) | instid1(VALU_DEP_3)
	v_fma_f64 v[56:57], -v[48:49], v[52:53], 1.0
	v_rcp_f64_e32 v[50:51], v[46:47]
	s_delay_alu instid0(VALU_DEP_1) | instskip(NEXT) | instid1(TRANS32_DEP_1)
	v_fmac_f64_e32 v[52:53], v[52:53], v[56:57]
	v_fma_f64 v[54:55], -v[46:47], v[50:51], 1.0
	s_delay_alu instid0(VALU_DEP_2) | instskip(NEXT) | instid1(VALU_DEP_2)
	v_fma_f64 v[56:57], -v[48:49], v[52:53], 1.0
	v_fmac_f64_e32 v[50:51], v[50:51], v[54:55]
	s_delay_alu instid0(VALU_DEP_2) | instskip(NEXT) | instid1(VALU_DEP_2)
	v_fmac_f64_e32 v[52:53], v[52:53], v[56:57]
	v_fma_f64 v[54:55], -v[46:47], v[50:51], 1.0
	s_delay_alu instid0(VALU_DEP_1) | instskip(SKIP_1) | instid1(VALU_DEP_2)
	v_fmac_f64_e32 v[50:51], v[50:51], v[54:55]
	v_div_scale_f64 v[54:55], s0, 1.0, v[16:17], 1.0
	v_mul_f64_e32 v[56:57], v[58:59], v[50:51]
	s_delay_alu instid0(VALU_DEP_2) | instskip(NEXT) | instid1(VALU_DEP_2)
	v_mul_f64_e32 v[60:61], v[54:55], v[52:53]
	v_fma_f64 v[46:47], -v[46:47], v[56:57], v[58:59]
	s_delay_alu instid0(VALU_DEP_2) | instskip(NEXT) | instid1(VALU_DEP_2)
	v_fma_f64 v[48:49], -v[48:49], v[60:61], v[54:55]
	v_div_fmas_f64 v[46:47], v[46:47], v[50:51], v[56:57]
	s_mov_b32 vcc_lo, s0
	s_delay_alu instid0(VALU_DEP_2) | instskip(NEXT) | instid1(VALU_DEP_2)
	v_div_fmas_f64 v[48:49], v[48:49], v[52:53], v[60:61]
	v_div_fixup_f64 v[44:45], v[46:47], v[44:45], v[42:43]
	s_delay_alu instid0(VALU_DEP_2)
	v_div_fixup_f64 v[42:43], v[48:49], v[16:17], 1.0
.LBB1_56:
	v_mul_f64_e32 v[46:47], v[8:9], v[8:9]
	s_wait_dscnt 0x3
	v_fma_f64 v[6:7], -v[6:7], v[34:35], v[10:11]
	v_mul_f64_e32 v[10:11], v[40:41], v[36:37]
	v_fma_f64 v[12:13], -v[34:35], v[34:35], v[12:13]
	v_add_f64_e32 v[18:19], 0xc0080000, v[18:19]
	s_mov_b64 s[0:1], 0x3d719799812dea11
	v_mov_b32_e32 v1, 0x848
	v_fma_f64 v[6:7], -v[8:9], v[46:47], v[6:7]
	v_fmac_f64_e32 v[10:11], v[34:35], v[32:33]
	v_mul_f64_e32 v[32:33], v[42:43], v[44:45]
	s_wait_dscnt 0x2
	v_mul_f64_e32 v[34:35], v[28:29], v[28:29]
	v_fma_f64 v[12:13], -v[46:47], v[46:47], v[12:13]
	v_fma_f64 v[8:9], -v[26:27], v[30:31], v[6:7]
	v_add_f64_e64 v[36:37], v[46:47], -v[10:11]
	v_fma_f64 v[26:27], -v[28:29], v[28:29], v[26:27]
	v_fma_f64 v[6:7], -v[28:29], v[34:35], v[6:7]
	s_delay_alu instid0(VALU_DEP_4) | instskip(NEXT) | instid1(VALU_DEP_1)
	v_fma_f64 v[8:9], -v[22:23], v[10:11], v[8:9]
	v_fmac_f64_e32 v[8:9], v[10:11], v[38:39]
	s_delay_alu instid0(VALU_DEP_1) | instskip(NEXT) | instid1(VALU_DEP_1)
	v_mul_f64_e32 v[8:9], v[8:9], v[32:33]
	v_mul_f64_e32 v[38:39], v[42:43], v[8:9]
	s_delay_alu instid0(VALU_DEP_1) | instskip(NEXT) | instid1(VALU_DEP_1)
	v_fmac_f64_e32 v[38:39], v[36:37], v[32:33]
	v_fma_f64 v[30:31], v[30:31], v[38:39], -v[10:11]
	v_fma_f64 v[10:11], -v[34:35], v[34:35], v[12:13]
	v_add_f64_e32 v[12:13], v[38:39], v[38:39]
	s_delay_alu instid0(VALU_DEP_3) | instskip(NEXT) | instid1(VALU_DEP_2)
	v_add_f64_e32 v[40:41], v[30:31], v[30:31]
	v_fma_f64 v[6:7], -v[6:7], v[12:13], v[10:11]
	v_add_f64_e64 v[10:11], v[22:23], -v[28:29]
	v_mul_f64_e32 v[12:13], v[12:13], v[30:31]
	s_delay_alu instid0(VALU_DEP_4) | instskip(NEXT) | instid1(VALU_DEP_1)
	v_fmac_f64_e32 v[40:41], v[38:39], v[38:39]
	v_fmac_f64_e32 v[6:7], v[26:27], v[40:41]
	s_delay_alu instid0(VALU_DEP_1) | instskip(SKIP_4) | instid1(VALU_DEP_4)
	v_fma_f64 v[10:11], -v[10:11], v[12:13], v[6:7]
	v_mul_f64_e32 v[6:7], v[18:19], v[30:31]
	v_add_f64_e64 v[12:13], -v[44:45], 1.0
	v_mul_f64_e32 v[18:19], v[20:21], v[32:33]
	v_fma_f64 v[20:21], -v[28:29], v[38:39], v[34:35]
	v_fmac_f64_e32 v[10:11], v[30:31], v[6:7]
	s_delay_alu instid0(VALU_DEP_4) | instskip(NEXT) | instid1(VALU_DEP_4)
	v_fma_f64 v[8:9], v[36:37], v[12:13], -v[8:9]
	v_fma_f64 v[6:7], v[24:25], v[12:13], -v[18:19]
	s_delay_alu instid0(VALU_DEP_4)
	v_add_f64_e32 v[12:13], v[20:21], v[30:31]
	v_mov_b64_e32 v[18:19], 0
	v_cmp_lt_f64_e64 s0, |v[10:11]|, s[0:1]
	ds_store_2addr_b64 v1, v[6:7], v[8:9] offset1:1
	s_and_b32 vcc_lo, exec_lo, s0
	s_cbranch_vccnz .LBB1_62
; %bb.57:
	v_fma_f64 v[16:17], v[12:13], v[12:13], v[10:11]
	s_delay_alu instid0(VALU_DEP_1) | instskip(SKIP_2) | instid1(SALU_CYCLE_1)
	v_cmp_gt_f64_e32 vcc_lo, 0x10000000, v[16:17]
	s_and_b32 s0, vcc_lo, exec_lo
	s_cselect_b32 s0, 0x100, 0
	v_ldexp_f64 v[16:17], v[16:17], s0
	s_cselect_b32 s0, 0xffffff80, 0
	s_delay_alu instid0(VALU_DEP_1) | instskip(SKIP_1) | instid1(TRANS32_DEP_1)
	v_rsq_f64_e32 v[18:19], v[16:17]
	v_cmp_class_f64_e64 vcc_lo, v[16:17], 0x260
	v_mul_f64_e32 v[20:21], v[16:17], v[18:19]
	v_mul_f64_e32 v[18:19], 0.5, v[18:19]
	s_delay_alu instid0(VALU_DEP_1) | instskip(NEXT) | instid1(VALU_DEP_1)
	v_fma_f64 v[22:23], -v[18:19], v[20:21], 0.5
	v_fmac_f64_e32 v[20:21], v[20:21], v[22:23]
	v_fmac_f64_e32 v[18:19], v[18:19], v[22:23]
	s_delay_alu instid0(VALU_DEP_2) | instskip(NEXT) | instid1(VALU_DEP_1)
	v_fma_f64 v[22:23], -v[20:21], v[20:21], v[16:17]
	v_fmac_f64_e32 v[20:21], v[22:23], v[18:19]
	s_delay_alu instid0(VALU_DEP_1) | instskip(NEXT) | instid1(VALU_DEP_1)
	v_fma_f64 v[22:23], -v[20:21], v[20:21], v[16:17]
	v_fmac_f64_e32 v[20:21], v[22:23], v[18:19]
	s_delay_alu instid0(VALU_DEP_1) | instskip(SKIP_1) | instid1(VALU_DEP_2)
	v_ldexp_f64 v[18:19], v[20:21], s0
	v_cmp_nge_f64_e64 s0, 0, v[12:13]
	v_dual_cndmask_b32 v19, v19, v17 :: v_dual_cndmask_b32 v18, v18, v16
	s_and_b32 vcc_lo, exec_lo, s0
	s_mov_b32 s0, 0
	s_cbranch_vccnz .LBB1_59
; %bb.58:
	s_delay_alu instid0(VALU_DEP_1)
	v_add_f64_e64 v[16:17], v[12:13], -v[18:19]
	s_and_not1_b32 vcc_lo, exec_lo, s0
	s_cbranch_vccz .LBB1_60
	s_branch .LBB1_61
.LBB1_59:
                                        ; implicit-def: $vgpr16_vgpr17
.LBB1_60:
	s_delay_alu instid0(VALU_DEP_1) | instskip(NEXT) | instid1(VALU_DEP_1)
	v_add_f64_e32 v[16:17], v[12:13], v[18:19]
	v_div_scale_f64 v[18:19], null, v[16:17], v[16:17], -v[10:11]
	s_delay_alu instid0(VALU_DEP_1) | instskip(SKIP_1) | instid1(TRANS32_DEP_1)
	v_rcp_f64_e32 v[20:21], v[18:19]
	v_nop
	v_fma_f64 v[22:23], -v[18:19], v[20:21], 1.0
	s_delay_alu instid0(VALU_DEP_1) | instskip(NEXT) | instid1(VALU_DEP_1)
	v_fmac_f64_e32 v[20:21], v[20:21], v[22:23]
	v_fma_f64 v[22:23], -v[18:19], v[20:21], 1.0
	s_delay_alu instid0(VALU_DEP_1) | instskip(SKIP_1) | instid1(VALU_DEP_1)
	v_fmac_f64_e32 v[20:21], v[20:21], v[22:23]
	v_div_scale_f64 v[22:23], vcc_lo, -v[10:11], v[16:17], -v[10:11]
	v_mul_f64_e32 v[24:25], v[22:23], v[20:21]
	s_delay_alu instid0(VALU_DEP_1) | instskip(NEXT) | instid1(VALU_DEP_1)
	v_fma_f64 v[18:19], -v[18:19], v[24:25], v[22:23]
	v_div_fmas_f64 v[18:19], v[18:19], v[20:21], v[24:25]
	s_delay_alu instid0(VALU_DEP_1)
	v_div_fixup_f64 v[16:17], v[18:19], v[16:17], -v[10:11]
.LBB1_61:
	s_delay_alu instid0(VALU_DEP_1) | instskip(SKIP_1) | instid1(VALU_DEP_2)
	v_mul_f64_e32 v[18:19], v[16:17], v[16:17]
	v_fma_f64 v[20:21], v[16:17], v[16:17], v[10:11]
	v_add_f64_e32 v[18:19], v[18:19], v[18:19]
	s_delay_alu instid0(VALU_DEP_1) | instskip(NEXT) | instid1(VALU_DEP_1)
	v_div_scale_f64 v[22:23], null, v[20:21], v[20:21], v[18:19]
	v_rcp_f64_e32 v[24:25], v[22:23]
	v_nop
	s_delay_alu instid0(TRANS32_DEP_1) | instskip(NEXT) | instid1(VALU_DEP_1)
	v_fma_f64 v[26:27], -v[22:23], v[24:25], 1.0
	v_fmac_f64_e32 v[24:25], v[24:25], v[26:27]
	s_delay_alu instid0(VALU_DEP_1) | instskip(NEXT) | instid1(VALU_DEP_1)
	v_fma_f64 v[26:27], -v[22:23], v[24:25], 1.0
	v_fmac_f64_e32 v[24:25], v[24:25], v[26:27]
	v_div_scale_f64 v[26:27], vcc_lo, v[18:19], v[20:21], v[18:19]
	s_delay_alu instid0(VALU_DEP_1) | instskip(NEXT) | instid1(VALU_DEP_1)
	v_mul_f64_e32 v[28:29], v[26:27], v[24:25]
	v_fma_f64 v[22:23], -v[22:23], v[28:29], v[26:27]
	s_delay_alu instid0(VALU_DEP_1) | instskip(NEXT) | instid1(VALU_DEP_1)
	v_div_fmas_f64 v[22:23], v[22:23], v[24:25], v[28:29]
	v_div_fixup_f64 v[18:19], v[22:23], v[20:21], v[18:19]
.LBB1_62:
	v_dual_mul_f64 v[48:49], v[2:3], v[4:5] :: v_dual_mov_b32 v1, 0
	v_mul_f64_e32 v[30:31], v[2:3], v[14:15]
	v_mul_f64_e32 v[34:35], v[6:7], v[8:9]
	s_delay_alu instid0(VALU_DEP_4)
	v_div_scale_f64 v[22:23], null, v[16:17], v[16:17], v[18:19]
	s_mov_b64 s[8:9], 0x3d719799812dea11
	s_mov_b32 s10, 0
	v_mul_f64_e32 v[20:21], v[48:49], v[48:49]
	v_fmac_f64_e32 v[34:35], v[4:5], v[14:15]
	v_rcp_f64_e32 v[24:25], v[22:23]
	s_delay_alu instid0(VALU_DEP_2) | instskip(NEXT) | instid1(TRANS32_DEP_1)
	v_fmac_f64_e32 v[20:21], v[30:31], v[30:31]
	v_fma_f64 v[26:27], -v[22:23], v[24:25], 1.0
	s_delay_alu instid0(VALU_DEP_2) | instskip(NEXT) | instid1(VALU_DEP_2)
	v_fmac_f64_e32 v[20:21], v[34:35], v[34:35]
	v_fmac_f64_e32 v[24:25], v[24:25], v[26:27]
	s_delay_alu instid0(VALU_DEP_2) | instskip(NEXT) | instid1(VALU_DEP_2)
	v_add_f64_e32 v[20:21], v[20:21], v[20:21]
	v_fma_f64 v[32:33], -v[22:23], v[24:25], 1.0
	s_delay_alu instid0(VALU_DEP_2) | instskip(NEXT) | instid1(VALU_DEP_2)
	v_cmp_gt_f64_e32 vcc_lo, 0x10000000, v[20:21]
	v_fmac_f64_e32 v[24:25], v[24:25], v[32:33]
	s_and_b32 s0, vcc_lo, exec_lo
	s_cselect_b32 s0, 0x100, 0
	v_div_scale_f64 v[38:39], vcc_lo, v[18:19], v[16:17], v[18:19]
	v_ldexp_f64 v[20:21], v[20:21], s0
	s_cselect_b32 s0, 0xffffff80, 0
	s_delay_alu instid0(VALU_DEP_2) | instskip(NEXT) | instid1(VALU_DEP_2)
	v_mul_f64_e32 v[32:33], v[38:39], v[24:25]
	v_rsq_f64_e32 v[28:29], v[20:21]
	s_delay_alu instid0(VALU_DEP_1) | instskip(NEXT) | instid1(TRANS32_DEP_1)
	v_fma_f64 v[22:23], -v[22:23], v[32:33], v[38:39]
	v_mul_f64_e32 v[26:27], v[20:21], v[28:29]
	v_mul_f64_e32 v[28:29], 0.5, v[28:29]
	s_delay_alu instid0(VALU_DEP_3) | instskip(SKIP_2) | instid1(VALU_DEP_4)
	v_div_fmas_f64 v[22:23], v[22:23], v[24:25], v[32:33]
	v_cmp_class_f64_e64 vcc_lo, v[20:21], 0x260
	v_mul_f64_e32 v[32:33], v[6:7], v[6:7]
	v_fma_f64 v[36:37], -v[28:29], v[26:27], 0.5
	s_delay_alu instid0(VALU_DEP_4)
	v_div_fixup_f64 v[16:17], v[22:23], v[16:17], v[18:19]
	v_add_f64_e64 v[22:23], -v[18:19], 1.0
	v_mul_f64_e32 v[18:19], v[8:9], v[8:9]
	v_fmac_f64_e32 v[32:33], v[4:5], v[4:5]
	v_fmac_f64_e32 v[26:27], v[26:27], v[36:37]
	;; [unrolled: 1-line block ×3, first 2 shown]
	v_mul_f64_e32 v[10:11], v[10:11], v[16:17]
	v_fmac_f64_e32 v[18:19], v[14:15], v[14:15]
	s_delay_alu instid0(VALU_DEP_4) | instskip(NEXT) | instid1(VALU_DEP_3)
	v_fma_f64 v[36:37], -v[26:27], v[26:27], v[20:21]
	v_fma_f64 v[10:11], v[12:13], v[22:23], -v[10:11]
	v_mov_b64_e32 v[22:23], 0
	s_delay_alu instid0(VALU_DEP_3) | instskip(NEXT) | instid1(VALU_DEP_3)
	v_fmac_f64_e32 v[26:27], v[36:37], v[28:29]
	v_fmac_f64_e32 v[18:19], v[10:11], v[10:11]
	ds_store_b64 v1, v[10:11] offset:2136
	v_fma_f64 v[24:25], -v[26:27], v[26:27], v[20:21]
	s_delay_alu instid0(VALU_DEP_1) | instskip(SKIP_2) | instid1(VALU_DEP_3)
	v_fmac_f64_e32 v[26:27], v[24:25], v[28:29]
	v_mov_b64_e32 v[24:25], 0
	v_mov_b64_e32 v[28:29], 0
	v_ldexp_f64 v[16:17], v[26:27], s0
	v_mov_b64_e32 v[26:27], 1.0
	s_delay_alu instid0(VALU_DEP_2) | instskip(SKIP_2) | instid1(VALU_DEP_3)
	v_dual_cndmask_b32 v13, v17, v21 :: v_dual_cndmask_b32 v12, v16, v20
	v_mov_b64_e32 v[16:17], 1.0
	v_mov_b64_e32 v[20:21], 0
	v_cmp_nle_f64_e32 vcc_lo, s[8:9], v[12:13]
	v_mul_f64_e32 v[12:13], v[2:3], v[2:3]
	s_cbranch_vccnz .LBB1_72
; %bb.63:
	v_mov_b64_e32 v[36:37], 0
	v_mov_b64_e32 v[40:41], 0
	v_mov_b64_e32 v[42:43], 1.0
	s_mov_b32 s1, 0xbff00000
	s_mov_b32 s14, 0
.LBB1_64:                               ; =>This Inner Loop Header: Depth=1
	v_cmp_eq_f64_e32 vcc_lo, 0, v[48:49]
	v_mov_b64_e32 v[50:51], 0
	v_mov_b64_e32 v[52:53], 1.0
	s_cbranch_vccnz .LBB1_66
; %bb.65:                               ;   in Loop: Header=BB1_64 Depth=1
	v_add_f64_e64 v[38:39], v[32:33], -v[12:13]
	v_add_f64_e32 v[44:45], v[48:49], v[48:49]
	s_delay_alu instid0(VALU_DEP_1) | instskip(SKIP_1) | instid1(VALU_DEP_2)
	v_div_scale_f64 v[46:47], null, v[44:45], v[44:45], v[38:39]
	v_div_scale_f64 v[54:55], vcc_lo, v[38:39], v[44:45], v[38:39]
	v_rcp_f64_e32 v[50:51], v[46:47]
	v_nop
	s_delay_alu instid0(TRANS32_DEP_1) | instskip(NEXT) | instid1(VALU_DEP_1)
	v_fma_f64 v[52:53], -v[46:47], v[50:51], 1.0
	v_fmac_f64_e32 v[50:51], v[50:51], v[52:53]
	s_delay_alu instid0(VALU_DEP_1) | instskip(NEXT) | instid1(VALU_DEP_1)
	v_fma_f64 v[52:53], -v[46:47], v[50:51], 1.0
	v_fmac_f64_e32 v[50:51], v[50:51], v[52:53]
	s_delay_alu instid0(VALU_DEP_1) | instskip(NEXT) | instid1(VALU_DEP_1)
	v_mul_f64_e32 v[52:53], v[54:55], v[50:51]
	v_fma_f64 v[46:47], -v[46:47], v[52:53], v[54:55]
	s_delay_alu instid0(VALU_DEP_1) | instskip(NEXT) | instid1(VALU_DEP_1)
	v_div_fmas_f64 v[46:47], v[46:47], v[50:51], v[52:53]
	v_div_fixup_f64 v[38:39], v[46:47], v[44:45], v[38:39]
	s_delay_alu instid0(VALU_DEP_1) | instskip(SKIP_1) | instid1(VALU_DEP_2)
	v_fma_f64 v[44:45], v[38:39], v[38:39], 1.0
	v_cmp_gt_f64_e32 vcc_lo, 0, v[38:39]
	v_cmp_gt_f64_e64 s0, 0x10000000, v[44:45]
	s_and_b32 s11, vcc_lo, exec_lo
	s_cselect_b32 s11, s1, 0x3ff00000
	s_and_b32 s0, s0, exec_lo
	s_cselect_b32 s0, 0x100, 0
	s_delay_alu instid0(SALU_CYCLE_1) | instskip(SKIP_1) | instid1(VALU_DEP_1)
	v_ldexp_f64 v[44:45], v[44:45], s0
	s_cselect_b32 s0, 0xffffff80, 0
	v_rsq_f64_e32 v[46:47], v[44:45]
	v_cmp_class_f64_e64 vcc_lo, v[44:45], 0x260
	s_delay_alu instid0(TRANS32_DEP_1) | instskip(SKIP_1) | instid1(VALU_DEP_1)
	v_mul_f64_e32 v[50:51], v[44:45], v[46:47]
	v_mul_f64_e32 v[46:47], 0.5, v[46:47]
	v_fma_f64 v[52:53], -v[46:47], v[50:51], 0.5
	s_delay_alu instid0(VALU_DEP_1) | instskip(SKIP_1) | instid1(VALU_DEP_2)
	v_fmac_f64_e32 v[50:51], v[50:51], v[52:53]
	v_fmac_f64_e32 v[46:47], v[46:47], v[52:53]
	v_fma_f64 v[52:53], -v[50:51], v[50:51], v[44:45]
	s_delay_alu instid0(VALU_DEP_1) | instskip(NEXT) | instid1(VALU_DEP_1)
	v_fmac_f64_e32 v[50:51], v[52:53], v[46:47]
	v_fma_f64 v[52:53], -v[50:51], v[50:51], v[44:45]
	s_delay_alu instid0(VALU_DEP_1) | instskip(NEXT) | instid1(VALU_DEP_1)
	v_fmac_f64_e32 v[50:51], v[52:53], v[46:47]
	v_ldexp_f64 v[46:47], v[50:51], s0
	s_delay_alu instid0(VALU_DEP_1) | instskip(NEXT) | instid1(VALU_DEP_1)
	v_dual_cndmask_b32 v45, v47, v45 :: v_dual_cndmask_b32 v44, v46, v44
	v_fmac_f64_e32 v[44:45], s[10:11], v[38:39]
	s_delay_alu instid0(VALU_DEP_1) | instskip(SKIP_1) | instid1(VALU_DEP_2)
	v_div_scale_f64 v[38:39], null, v[44:45], v[44:45], s[10:11]
	v_div_scale_f64 v[52:53], vcc_lo, s[10:11], v[44:45], s[10:11]
	v_rcp_f64_e32 v[46:47], v[38:39]
	v_nop
	s_delay_alu instid0(TRANS32_DEP_1) | instskip(NEXT) | instid1(VALU_DEP_1)
	v_fma_f64 v[50:51], -v[38:39], v[46:47], 1.0
	v_fmac_f64_e32 v[46:47], v[46:47], v[50:51]
	s_delay_alu instid0(VALU_DEP_1) | instskip(NEXT) | instid1(VALU_DEP_1)
	v_fma_f64 v[50:51], -v[38:39], v[46:47], 1.0
	v_fmac_f64_e32 v[46:47], v[46:47], v[50:51]
	s_delay_alu instid0(VALU_DEP_1) | instskip(NEXT) | instid1(VALU_DEP_1)
	v_mul_f64_e32 v[50:51], v[52:53], v[46:47]
	v_fma_f64 v[38:39], -v[38:39], v[50:51], v[52:53]
	s_delay_alu instid0(VALU_DEP_1) | instskip(NEXT) | instid1(VALU_DEP_1)
	v_div_fmas_f64 v[38:39], v[38:39], v[46:47], v[50:51]
	v_div_fixup_f64 v[38:39], v[38:39], v[44:45], s[10:11]
	s_delay_alu instid0(VALU_DEP_1) | instskip(NEXT) | instid1(VALU_DEP_1)
	v_fma_f64 v[44:45], v[38:39], v[38:39], 1.0
	v_cmp_gt_f64_e32 vcc_lo, 0x10000000, v[44:45]
	s_and_b32 s0, vcc_lo, exec_lo
	s_cselect_b32 s0, 0x100, 0
	s_delay_alu instid0(SALU_CYCLE_1) | instskip(SKIP_1) | instid1(VALU_DEP_1)
	v_ldexp_f64 v[44:45], v[44:45], s0
	s_cselect_b32 s0, 0xffffff80, 0
	v_rsq_f64_e32 v[46:47], v[44:45]
	v_cmp_class_f64_e64 vcc_lo, v[44:45], 0x260
	s_delay_alu instid0(TRANS32_DEP_1) | instskip(SKIP_1) | instid1(VALU_DEP_1)
	v_mul_f64_e32 v[50:51], v[44:45], v[46:47]
	v_mul_f64_e32 v[46:47], 0.5, v[46:47]
	v_fma_f64 v[52:53], -v[46:47], v[50:51], 0.5
	s_delay_alu instid0(VALU_DEP_1) | instskip(SKIP_1) | instid1(VALU_DEP_2)
	v_fmac_f64_e32 v[50:51], v[50:51], v[52:53]
	v_fmac_f64_e32 v[46:47], v[46:47], v[52:53]
	v_fma_f64 v[52:53], -v[50:51], v[50:51], v[44:45]
	s_delay_alu instid0(VALU_DEP_1) | instskip(NEXT) | instid1(VALU_DEP_1)
	v_fmac_f64_e32 v[50:51], v[52:53], v[46:47]
	v_fma_f64 v[52:53], -v[50:51], v[50:51], v[44:45]
	s_delay_alu instid0(VALU_DEP_1) | instskip(NEXT) | instid1(VALU_DEP_1)
	v_fmac_f64_e32 v[50:51], v[52:53], v[46:47]
	v_ldexp_f64 v[46:47], v[50:51], s0
	s_delay_alu instid0(VALU_DEP_1) | instskip(NEXT) | instid1(VALU_DEP_1)
	v_dual_cndmask_b32 v45, v47, v45 :: v_dual_cndmask_b32 v44, v46, v44
	v_div_scale_f64 v[46:47], null, v[44:45], v[44:45], 1.0
	s_delay_alu instid0(VALU_DEP_1) | instskip(SKIP_1) | instid1(TRANS32_DEP_1)
	v_rcp_f64_e32 v[50:51], v[46:47]
	v_nop
	v_fma_f64 v[52:53], -v[46:47], v[50:51], 1.0
	s_delay_alu instid0(VALU_DEP_1) | instskip(NEXT) | instid1(VALU_DEP_1)
	v_fmac_f64_e32 v[50:51], v[50:51], v[52:53]
	v_fma_f64 v[52:53], -v[46:47], v[50:51], 1.0
	s_delay_alu instid0(VALU_DEP_1) | instskip(SKIP_1) | instid1(VALU_DEP_1)
	v_fmac_f64_e32 v[50:51], v[50:51], v[52:53]
	v_div_scale_f64 v[52:53], vcc_lo, 1.0, v[44:45], 1.0
	v_mul_f64_e32 v[54:55], v[52:53], v[50:51]
	s_delay_alu instid0(VALU_DEP_1) | instskip(NEXT) | instid1(VALU_DEP_1)
	v_fma_f64 v[46:47], -v[46:47], v[54:55], v[52:53]
	v_div_fmas_f64 v[46:47], v[46:47], v[50:51], v[54:55]
	s_delay_alu instid0(VALU_DEP_1) | instskip(NEXT) | instid1(VALU_DEP_1)
	v_div_fixup_f64 v[52:53], v[46:47], v[44:45], 1.0
	v_mul_f64_e32 v[50:51], v[38:39], v[52:53]
.LBB1_66:                               ;   in Loop: Header=BB1_64 Depth=1
	s_delay_alu instid0(VALU_DEP_1) | instskip(NEXT) | instid1(VALU_DEP_2)
	v_mul_f64_e32 v[44:45], v[48:49], v[52:53]
	v_mul_f64_e32 v[38:39], v[34:35], v[50:51]
	;; [unrolled: 1-line block ×3, first 2 shown]
	v_mov_b64_e32 v[56:57], 1.0
	v_mov_b64_e32 v[58:59], 0
	v_mov_b64_e32 v[60:61], 1.0
	v_fma_f64 v[54:55], -v[32:33], v[50:51], v[44:45]
	v_fma_f64 v[48:49], v[30:31], v[52:53], -v[38:39]
	v_fma_f64 v[38:39], v[12:13], v[52:53], -v[46:47]
	s_delay_alu instid0(VALU_DEP_3) | instskip(NEXT) | instid1(VALU_DEP_3)
	v_mul_f64_e32 v[54:55], v[50:51], v[54:55]
	v_cmp_eq_f64_e32 vcc_lo, 0, v[48:49]
	s_delay_alu instid0(VALU_DEP_2)
	v_fma_f64 v[38:39], v[52:53], v[38:39], -v[54:55]
	v_mov_b64_e32 v[54:55], 0
	s_cbranch_vccnz .LBB1_68
; %bb.67:                               ;   in Loop: Header=BB1_64 Depth=1
	s_delay_alu instid0(VALU_DEP_2) | instskip(SKIP_1) | instid1(VALU_DEP_1)
	v_add_f64_e64 v[58:59], v[18:19], -v[38:39]
	v_add_f64_e32 v[60:61], v[48:49], v[48:49]
	v_div_scale_f64 v[62:63], null, v[60:61], v[60:61], v[58:59]
	v_div_scale_f64 v[68:69], vcc_lo, v[58:59], v[60:61], v[58:59]
	s_delay_alu instid0(VALU_DEP_2) | instskip(SKIP_1) | instid1(TRANS32_DEP_1)
	v_rcp_f64_e32 v[64:65], v[62:63]
	v_nop
	v_fma_f64 v[66:67], -v[62:63], v[64:65], 1.0
	s_delay_alu instid0(VALU_DEP_1) | instskip(NEXT) | instid1(VALU_DEP_1)
	v_fmac_f64_e32 v[64:65], v[64:65], v[66:67]
	v_fma_f64 v[66:67], -v[62:63], v[64:65], 1.0
	s_delay_alu instid0(VALU_DEP_1) | instskip(NEXT) | instid1(VALU_DEP_1)
	v_fmac_f64_e32 v[64:65], v[64:65], v[66:67]
	v_mul_f64_e32 v[66:67], v[68:69], v[64:65]
	s_delay_alu instid0(VALU_DEP_1) | instskip(NEXT) | instid1(VALU_DEP_1)
	v_fma_f64 v[62:63], -v[62:63], v[66:67], v[68:69]
	v_div_fmas_f64 v[62:63], v[62:63], v[64:65], v[66:67]
	s_delay_alu instid0(VALU_DEP_1) | instskip(NEXT) | instid1(VALU_DEP_1)
	v_div_fixup_f64 v[58:59], v[62:63], v[60:61], v[58:59]
	v_fma_f64 v[60:61], v[58:59], v[58:59], 1.0
	v_cmp_gt_f64_e32 vcc_lo, 0, v[58:59]
	s_delay_alu instid0(VALU_DEP_2) | instskip(SKIP_4) | instid1(SALU_CYCLE_1)
	v_cmp_gt_f64_e64 s0, 0x10000000, v[60:61]
	s_and_b32 s11, vcc_lo, exec_lo
	s_cselect_b32 s11, s1, 0x3ff00000
	s_and_b32 s0, s0, exec_lo
	s_cselect_b32 s0, 0x100, 0
	v_ldexp_f64 v[60:61], v[60:61], s0
	s_cselect_b32 s0, 0xffffff80, 0
	s_delay_alu instid0(VALU_DEP_1) | instskip(SKIP_1) | instid1(TRANS32_DEP_1)
	v_rsq_f64_e32 v[62:63], v[60:61]
	v_cmp_class_f64_e64 vcc_lo, v[60:61], 0x260
	v_mul_f64_e32 v[64:65], v[60:61], v[62:63]
	v_mul_f64_e32 v[62:63], 0.5, v[62:63]
	s_delay_alu instid0(VALU_DEP_1) | instskip(NEXT) | instid1(VALU_DEP_1)
	v_fma_f64 v[66:67], -v[62:63], v[64:65], 0.5
	v_fmac_f64_e32 v[64:65], v[64:65], v[66:67]
	v_fmac_f64_e32 v[62:63], v[62:63], v[66:67]
	s_delay_alu instid0(VALU_DEP_2) | instskip(NEXT) | instid1(VALU_DEP_1)
	v_fma_f64 v[66:67], -v[64:65], v[64:65], v[60:61]
	v_fmac_f64_e32 v[64:65], v[66:67], v[62:63]
	s_delay_alu instid0(VALU_DEP_1) | instskip(NEXT) | instid1(VALU_DEP_1)
	v_fma_f64 v[66:67], -v[64:65], v[64:65], v[60:61]
	v_fmac_f64_e32 v[64:65], v[66:67], v[62:63]
	s_delay_alu instid0(VALU_DEP_1) | instskip(NEXT) | instid1(VALU_DEP_1)
	v_ldexp_f64 v[62:63], v[64:65], s0
	v_dual_cndmask_b32 v61, v63, v61 :: v_dual_cndmask_b32 v60, v62, v60
	s_delay_alu instid0(VALU_DEP_1) | instskip(NEXT) | instid1(VALU_DEP_1)
	v_fmac_f64_e32 v[60:61], s[10:11], v[58:59]
	v_div_scale_f64 v[58:59], null, v[60:61], v[60:61], s[10:11]
	v_div_scale_f64 v[66:67], vcc_lo, s[10:11], v[60:61], s[10:11]
	s_delay_alu instid0(VALU_DEP_2) | instskip(SKIP_1) | instid1(TRANS32_DEP_1)
	v_rcp_f64_e32 v[62:63], v[58:59]
	v_nop
	v_fma_f64 v[64:65], -v[58:59], v[62:63], 1.0
	s_delay_alu instid0(VALU_DEP_1) | instskip(NEXT) | instid1(VALU_DEP_1)
	v_fmac_f64_e32 v[62:63], v[62:63], v[64:65]
	v_fma_f64 v[64:65], -v[58:59], v[62:63], 1.0
	s_delay_alu instid0(VALU_DEP_1) | instskip(NEXT) | instid1(VALU_DEP_1)
	v_fmac_f64_e32 v[62:63], v[62:63], v[64:65]
	v_mul_f64_e32 v[64:65], v[66:67], v[62:63]
	s_delay_alu instid0(VALU_DEP_1) | instskip(NEXT) | instid1(VALU_DEP_1)
	v_fma_f64 v[58:59], -v[58:59], v[64:65], v[66:67]
	v_div_fmas_f64 v[58:59], v[58:59], v[62:63], v[64:65]
	s_delay_alu instid0(VALU_DEP_1) | instskip(NEXT) | instid1(VALU_DEP_1)
	v_div_fixup_f64 v[58:59], v[58:59], v[60:61], s[10:11]
	v_fma_f64 v[60:61], v[58:59], v[58:59], 1.0
	s_delay_alu instid0(VALU_DEP_1) | instskip(SKIP_2) | instid1(SALU_CYCLE_1)
	v_cmp_gt_f64_e32 vcc_lo, 0x10000000, v[60:61]
	s_and_b32 s0, vcc_lo, exec_lo
	s_cselect_b32 s0, 0x100, 0
	v_ldexp_f64 v[60:61], v[60:61], s0
	s_cselect_b32 s0, 0xffffff80, 0
	s_delay_alu instid0(VALU_DEP_1) | instskip(SKIP_1) | instid1(TRANS32_DEP_1)
	v_rsq_f64_e32 v[62:63], v[60:61]
	v_cmp_class_f64_e64 vcc_lo, v[60:61], 0x260
	v_mul_f64_e32 v[64:65], v[60:61], v[62:63]
	v_mul_f64_e32 v[62:63], 0.5, v[62:63]
	s_delay_alu instid0(VALU_DEP_1) | instskip(NEXT) | instid1(VALU_DEP_1)
	v_fma_f64 v[66:67], -v[62:63], v[64:65], 0.5
	v_fmac_f64_e32 v[64:65], v[64:65], v[66:67]
	v_fmac_f64_e32 v[62:63], v[62:63], v[66:67]
	s_delay_alu instid0(VALU_DEP_2) | instskip(NEXT) | instid1(VALU_DEP_1)
	v_fma_f64 v[66:67], -v[64:65], v[64:65], v[60:61]
	v_fmac_f64_e32 v[64:65], v[66:67], v[62:63]
	s_delay_alu instid0(VALU_DEP_1) | instskip(NEXT) | instid1(VALU_DEP_1)
	v_fma_f64 v[66:67], -v[64:65], v[64:65], v[60:61]
	v_fmac_f64_e32 v[64:65], v[66:67], v[62:63]
	s_delay_alu instid0(VALU_DEP_1) | instskip(NEXT) | instid1(VALU_DEP_1)
	v_ldexp_f64 v[62:63], v[64:65], s0
	v_dual_cndmask_b32 v61, v63, v61 :: v_dual_cndmask_b32 v60, v62, v60
	s_delay_alu instid0(VALU_DEP_1) | instskip(NEXT) | instid1(VALU_DEP_1)
	v_div_scale_f64 v[62:63], null, v[60:61], v[60:61], 1.0
	v_rcp_f64_e32 v[64:65], v[62:63]
	v_nop
	s_delay_alu instid0(TRANS32_DEP_1) | instskip(NEXT) | instid1(VALU_DEP_1)
	v_fma_f64 v[66:67], -v[62:63], v[64:65], 1.0
	v_fmac_f64_e32 v[64:65], v[64:65], v[66:67]
	s_delay_alu instid0(VALU_DEP_1) | instskip(NEXT) | instid1(VALU_DEP_1)
	v_fma_f64 v[66:67], -v[62:63], v[64:65], 1.0
	v_fmac_f64_e32 v[64:65], v[64:65], v[66:67]
	v_div_scale_f64 v[66:67], vcc_lo, 1.0, v[60:61], 1.0
	s_delay_alu instid0(VALU_DEP_1) | instskip(NEXT) | instid1(VALU_DEP_1)
	v_mul_f64_e32 v[68:69], v[66:67], v[64:65]
	v_fma_f64 v[62:63], -v[62:63], v[68:69], v[66:67]
	s_delay_alu instid0(VALU_DEP_1) | instskip(NEXT) | instid1(VALU_DEP_1)
	v_div_fmas_f64 v[62:63], v[62:63], v[64:65], v[68:69]
	v_div_fixup_f64 v[60:61], v[62:63], v[60:61], 1.0
	s_delay_alu instid0(VALU_DEP_1)
	v_mul_f64_e32 v[58:59], v[58:59], v[60:61]
.LBB1_68:                               ;   in Loop: Header=BB1_64 Depth=1
	v_fmac_f64_e32 v[46:47], v[32:33], v[52:53]
	v_mul_f64_e32 v[62:63], v[34:35], v[52:53]
	v_fmac_f64_e32 v[44:45], v[12:13], v[50:51]
	s_delay_alu instid0(VALU_DEP_4)
	v_mul_f64_e32 v[64:65], v[48:49], v[58:59]
	v_mul_f64_e32 v[66:67], v[48:49], v[60:61]
	v_mul_f64_e32 v[12:13], v[50:51], v[46:47]
	v_fmac_f64_e32 v[62:63], v[30:31], v[50:51]
	v_mul_f64_e32 v[34:35], v[52:53], v[46:47]
	v_fma_f64 v[30:31], v[18:19], v[60:61], v[64:65]
	v_fma_f64 v[46:47], v[38:39], v[58:59], v[66:67]
	v_fma_f64 v[12:13], v[52:53], v[44:45], -v[12:13]
	v_mul_f64_e32 v[32:33], v[62:63], v[60:61]
	v_fmac_f64_e32 v[34:35], v[50:51], v[44:45]
	v_mul_f64_e32 v[48:49], v[60:61], v[30:31]
	s_delay_alu instid0(VALU_DEP_3) | instskip(NEXT) | instid1(VALU_DEP_2)
	v_fmac_f64_e32 v[32:33], v[12:13], v[58:59]
	v_fmac_f64_e32 v[48:49], v[58:59], v[46:47]
	s_delay_alu instid0(VALU_DEP_2)
	v_cmp_eq_f64_e32 vcc_lo, 0, v[32:33]
	s_cbranch_vccnz .LBB1_70
; %bb.69:                               ;   in Loop: Header=BB1_64 Depth=1
	s_delay_alu instid0(VALU_DEP_2) | instskip(SKIP_1) | instid1(VALU_DEP_1)
	v_add_f64_e64 v[44:45], v[48:49], -v[34:35]
	v_add_f64_e32 v[54:55], v[32:33], v[32:33]
	v_div_scale_f64 v[56:57], null, v[54:55], v[54:55], v[44:45]
	v_div_scale_f64 v[72:73], vcc_lo, v[44:45], v[54:55], v[44:45]
	s_delay_alu instid0(VALU_DEP_2) | instskip(SKIP_1) | instid1(TRANS32_DEP_1)
	v_rcp_f64_e32 v[68:69], v[56:57]
	v_nop
	v_fma_f64 v[70:71], -v[56:57], v[68:69], 1.0
	s_delay_alu instid0(VALU_DEP_1) | instskip(NEXT) | instid1(VALU_DEP_1)
	v_fmac_f64_e32 v[68:69], v[68:69], v[70:71]
	v_fma_f64 v[70:71], -v[56:57], v[68:69], 1.0
	s_delay_alu instid0(VALU_DEP_1) | instskip(NEXT) | instid1(VALU_DEP_1)
	v_fmac_f64_e32 v[68:69], v[68:69], v[70:71]
	v_mul_f64_e32 v[70:71], v[72:73], v[68:69]
	s_delay_alu instid0(VALU_DEP_1) | instskip(NEXT) | instid1(VALU_DEP_1)
	v_fma_f64 v[56:57], -v[56:57], v[70:71], v[72:73]
	v_div_fmas_f64 v[56:57], v[56:57], v[68:69], v[70:71]
	s_delay_alu instid0(VALU_DEP_1) | instskip(NEXT) | instid1(VALU_DEP_1)
	v_div_fixup_f64 v[44:45], v[56:57], v[54:55], v[44:45]
	v_fma_f64 v[54:55], v[44:45], v[44:45], 1.0
	v_cmp_gt_f64_e32 vcc_lo, 0, v[44:45]
	s_delay_alu instid0(VALU_DEP_2) | instskip(SKIP_4) | instid1(SALU_CYCLE_1)
	v_cmp_gt_f64_e64 s0, 0x10000000, v[54:55]
	s_and_b32 s11, vcc_lo, exec_lo
	s_cselect_b32 s11, s1, 0x3ff00000
	s_and_b32 s0, s0, exec_lo
	s_cselect_b32 s0, 0x100, 0
	v_ldexp_f64 v[54:55], v[54:55], s0
	s_cselect_b32 s0, 0xffffff80, 0
	s_delay_alu instid0(VALU_DEP_1) | instskip(SKIP_1) | instid1(TRANS32_DEP_1)
	v_rsq_f64_e32 v[56:57], v[54:55]
	v_cmp_class_f64_e64 vcc_lo, v[54:55], 0x260
	v_mul_f64_e32 v[68:69], v[54:55], v[56:57]
	v_mul_f64_e32 v[56:57], 0.5, v[56:57]
	s_delay_alu instid0(VALU_DEP_1) | instskip(NEXT) | instid1(VALU_DEP_1)
	v_fma_f64 v[70:71], -v[56:57], v[68:69], 0.5
	v_fmac_f64_e32 v[68:69], v[68:69], v[70:71]
	v_fmac_f64_e32 v[56:57], v[56:57], v[70:71]
	s_delay_alu instid0(VALU_DEP_2) | instskip(NEXT) | instid1(VALU_DEP_1)
	v_fma_f64 v[70:71], -v[68:69], v[68:69], v[54:55]
	v_fmac_f64_e32 v[68:69], v[70:71], v[56:57]
	s_delay_alu instid0(VALU_DEP_1) | instskip(NEXT) | instid1(VALU_DEP_1)
	v_fma_f64 v[70:71], -v[68:69], v[68:69], v[54:55]
	v_fmac_f64_e32 v[68:69], v[70:71], v[56:57]
	s_delay_alu instid0(VALU_DEP_1) | instskip(NEXT) | instid1(VALU_DEP_1)
	v_ldexp_f64 v[56:57], v[68:69], s0
	v_dual_cndmask_b32 v55, v57, v55 :: v_dual_cndmask_b32 v54, v56, v54
	s_delay_alu instid0(VALU_DEP_1) | instskip(NEXT) | instid1(VALU_DEP_1)
	v_fmac_f64_e32 v[54:55], s[10:11], v[44:45]
	v_div_scale_f64 v[44:45], null, v[54:55], v[54:55], s[10:11]
	v_div_scale_f64 v[70:71], vcc_lo, s[10:11], v[54:55], s[10:11]
	s_delay_alu instid0(VALU_DEP_2) | instskip(SKIP_1) | instid1(TRANS32_DEP_1)
	v_rcp_f64_e32 v[56:57], v[44:45]
	v_nop
	v_fma_f64 v[68:69], -v[44:45], v[56:57], 1.0
	s_delay_alu instid0(VALU_DEP_1) | instskip(NEXT) | instid1(VALU_DEP_1)
	v_fmac_f64_e32 v[56:57], v[56:57], v[68:69]
	v_fma_f64 v[68:69], -v[44:45], v[56:57], 1.0
	s_delay_alu instid0(VALU_DEP_1) | instskip(NEXT) | instid1(VALU_DEP_1)
	v_fmac_f64_e32 v[56:57], v[56:57], v[68:69]
	v_mul_f64_e32 v[68:69], v[70:71], v[56:57]
	s_delay_alu instid0(VALU_DEP_1) | instskip(NEXT) | instid1(VALU_DEP_1)
	v_fma_f64 v[44:45], -v[44:45], v[68:69], v[70:71]
	v_div_fmas_f64 v[44:45], v[44:45], v[56:57], v[68:69]
	s_delay_alu instid0(VALU_DEP_1) | instskip(NEXT) | instid1(VALU_DEP_1)
	v_div_fixup_f64 v[44:45], v[44:45], v[54:55], s[10:11]
	v_fma_f64 v[54:55], v[44:45], v[44:45], 1.0
	s_delay_alu instid0(VALU_DEP_1) | instskip(SKIP_2) | instid1(SALU_CYCLE_1)
	v_cmp_gt_f64_e32 vcc_lo, 0x10000000, v[54:55]
	s_and_b32 s0, vcc_lo, exec_lo
	s_cselect_b32 s0, 0x100, 0
	v_ldexp_f64 v[54:55], v[54:55], s0
	s_cselect_b32 s0, 0xffffff80, 0
	s_delay_alu instid0(VALU_DEP_1) | instskip(SKIP_1) | instid1(TRANS32_DEP_1)
	v_rsq_f64_e32 v[56:57], v[54:55]
	v_cmp_class_f64_e64 vcc_lo, v[54:55], 0x260
	v_mul_f64_e32 v[68:69], v[54:55], v[56:57]
	v_mul_f64_e32 v[56:57], 0.5, v[56:57]
	s_delay_alu instid0(VALU_DEP_1) | instskip(NEXT) | instid1(VALU_DEP_1)
	v_fma_f64 v[70:71], -v[56:57], v[68:69], 0.5
	v_fmac_f64_e32 v[68:69], v[68:69], v[70:71]
	v_fmac_f64_e32 v[56:57], v[56:57], v[70:71]
	s_delay_alu instid0(VALU_DEP_2) | instskip(NEXT) | instid1(VALU_DEP_1)
	v_fma_f64 v[70:71], -v[68:69], v[68:69], v[54:55]
	v_fmac_f64_e32 v[68:69], v[70:71], v[56:57]
	s_delay_alu instid0(VALU_DEP_1) | instskip(NEXT) | instid1(VALU_DEP_1)
	v_fma_f64 v[70:71], -v[68:69], v[68:69], v[54:55]
	v_fmac_f64_e32 v[68:69], v[70:71], v[56:57]
	s_delay_alu instid0(VALU_DEP_1) | instskip(NEXT) | instid1(VALU_DEP_1)
	v_ldexp_f64 v[56:57], v[68:69], s0
	v_dual_cndmask_b32 v55, v57, v55 :: v_dual_cndmask_b32 v54, v56, v54
	s_delay_alu instid0(VALU_DEP_1) | instskip(NEXT) | instid1(VALU_DEP_1)
	v_div_scale_f64 v[56:57], null, v[54:55], v[54:55], 1.0
	v_rcp_f64_e32 v[68:69], v[56:57]
	v_nop
	s_delay_alu instid0(TRANS32_DEP_1) | instskip(NEXT) | instid1(VALU_DEP_1)
	v_fma_f64 v[70:71], -v[56:57], v[68:69], 1.0
	v_fmac_f64_e32 v[68:69], v[68:69], v[70:71]
	s_delay_alu instid0(VALU_DEP_1) | instskip(NEXT) | instid1(VALU_DEP_1)
	v_fma_f64 v[70:71], -v[56:57], v[68:69], 1.0
	v_fmac_f64_e32 v[68:69], v[68:69], v[70:71]
	v_div_scale_f64 v[70:71], vcc_lo, 1.0, v[54:55], 1.0
	s_delay_alu instid0(VALU_DEP_1) | instskip(NEXT) | instid1(VALU_DEP_1)
	v_mul_f64_e32 v[72:73], v[70:71], v[68:69]
	v_fma_f64 v[56:57], -v[56:57], v[72:73], v[70:71]
	s_delay_alu instid0(VALU_DEP_1) | instskip(NEXT) | instid1(VALU_DEP_1)
	v_div_fmas_f64 v[56:57], v[56:57], v[68:69], v[72:73]
	v_div_fixup_f64 v[56:57], v[56:57], v[54:55], 1.0
	s_delay_alu instid0(VALU_DEP_1)
	v_mul_f64_e32 v[54:55], v[44:45], v[56:57]
.LBB1_70:                               ;   in Loop: Header=BB1_64 Depth=1
	v_mul_f64_e32 v[44:45], v[28:29], v[50:51]
	v_mul_f64_e32 v[62:63], v[62:63], v[58:59]
	;; [unrolled: 1-line block ×4, first 2 shown]
	v_fma_f64 v[38:39], v[38:39], v[60:61], -v[64:65]
	s_add_co_i32 s0, s14, 1
	v_fma_f64 v[44:45], v[42:43], v[52:53], -v[44:45]
	v_fma_f64 v[62:63], v[12:13], v[60:61], -v[62:63]
	v_fma_f64 v[12:13], -v[18:19], v[58:59], v[66:67]
	v_mul_f64_e32 v[18:19], v[58:59], v[30:31]
	v_mul_f64_e32 v[30:31], v[22:23], v[58:59]
	v_fma_f64 v[68:69], v[40:41], v[52:53], -v[68:69]
	v_mul_f64_e32 v[22:23], v[22:23], v[60:61]
	v_fma_f64 v[70:71], v[36:37], v[52:53], -v[70:71]
	v_mul_f64_e32 v[12:13], v[58:59], v[12:13]
	v_fma_f64 v[18:19], v[60:61], v[46:47], -v[18:19]
	v_fma_f64 v[46:47], v[44:45], v[60:61], -v[30:31]
	v_mul_f64_e32 v[30:31], v[20:21], v[58:59]
	v_fmac_f64_e32 v[22:23], v[44:45], v[58:59]
	v_mul_f64_e32 v[20:21], v[20:21], v[60:61]
	v_fma_f64 v[12:13], v[60:61], v[38:39], -v[12:13]
	s_delay_alu instid0(VALU_DEP_4) | instskip(SKIP_3) | instid1(VALU_DEP_3)
	v_fma_f64 v[44:45], v[68:69], v[60:61], -v[30:31]
	v_mul_f64_e32 v[30:31], v[16:17], v[58:59]
	v_mul_f64_e32 v[16:17], v[16:17], v[60:61]
	v_fmac_f64_e32 v[20:21], v[68:69], v[58:59]
	v_fma_f64 v[38:39], v[70:71], v[60:61], -v[30:31]
	s_delay_alu instid0(VALU_DEP_3) | instskip(SKIP_4) | instid1(VALU_DEP_4)
	v_fmac_f64_e32 v[16:17], v[70:71], v[58:59]
	v_mul_f64_e32 v[58:59], v[28:29], v[52:53]
	v_mul_f64_e32 v[28:29], v[32:33], v[56:57]
	;; [unrolled: 1-line block ×4, first 2 shown]
	v_fmac_f64_e32 v[58:59], v[42:43], v[50:51]
	v_mul_f64_e32 v[42:43], v[26:27], v[52:53]
	s_delay_alu instid0(VALU_DEP_4) | instskip(NEXT) | instid1(VALU_DEP_2)
	v_fmac_f64_e32 v[30:31], v[62:63], v[54:55]
	v_fmac_f64_e32 v[42:43], v[40:41], v[50:51]
	v_mul_f64_e32 v[40:41], v[24:25], v[52:53]
	v_mul_f64_e32 v[24:25], v[32:33], v[54:55]
	s_delay_alu instid0(VALU_DEP_2) | instskip(SKIP_2) | instid1(VALU_DEP_4)
	v_fmac_f64_e32 v[40:41], v[36:37], v[50:51]
	v_fma_f64 v[36:37], v[34:35], v[54:55], v[28:29]
	v_fma_f64 v[28:29], -v[48:49], v[54:55], v[28:29]
	v_fma_f64 v[26:27], v[34:35], v[56:57], -v[24:25]
	v_fmac_f64_e32 v[24:25], v[48:49], v[56:57]
	v_fma_f64 v[48:49], v[62:63], v[56:57], -v[18:19]
	s_delay_alu instid0(VALU_DEP_4) | instskip(NEXT) | instid1(VALU_DEP_1)
	v_mul_f64_e32 v[18:19], v[54:55], v[28:29]
	v_fma_f64 v[32:33], v[56:57], v[26:27], -v[18:19]
	s_delay_alu instid0(VALU_DEP_4) | instskip(NEXT) | instid1(VALU_DEP_1)
	v_mul_f64_e32 v[18:19], v[54:55], v[24:25]
	v_fma_f64 v[34:35], v[56:57], v[36:37], -v[18:19]
	v_mul_f64_e32 v[18:19], v[56:57], v[24:25]
	v_mul_f64_e32 v[24:25], v[22:23], v[54:55]
	;; [unrolled: 1-line block ×3, first 2 shown]
	s_delay_alu instid0(VALU_DEP_3) | instskip(SKIP_1) | instid1(VALU_DEP_4)
	v_fmac_f64_e32 v[18:19], v[54:55], v[36:37]
	v_mul_f64_e32 v[36:37], v[48:49], v[48:49]
	v_fma_f64 v[28:29], v[58:59], v[56:57], -v[24:25]
	v_mul_f64_e32 v[24:25], v[20:21], v[54:55]
	v_mul_f64_e32 v[20:21], v[20:21], v[56:57]
	v_fmac_f64_e32 v[22:23], v[58:59], v[54:55]
	v_fmac_f64_e32 v[36:37], v[30:31], v[30:31]
	s_delay_alu instid0(VALU_DEP_4) | instskip(SKIP_4) | instid1(VALU_DEP_4)
	v_fma_f64 v[26:27], v[42:43], v[56:57], -v[24:25]
	v_mul_f64_e32 v[24:25], v[16:17], v[54:55]
	v_mul_f64_e32 v[16:17], v[16:17], v[56:57]
	v_fmac_f64_e32 v[20:21], v[42:43], v[54:55]
	v_fmac_f64_e32 v[36:37], v[34:35], v[34:35]
	v_fma_f64 v[24:25], v[40:41], v[56:57], -v[24:25]
	s_delay_alu instid0(VALU_DEP_4) | instskip(NEXT) | instid1(VALU_DEP_3)
	v_fmac_f64_e32 v[16:17], v[40:41], v[54:55]
	v_add_f64_e32 v[36:37], v[36:37], v[36:37]
	s_delay_alu instid0(VALU_DEP_1) | instskip(SKIP_2) | instid1(SALU_CYCLE_1)
	v_cmp_gt_f64_e32 vcc_lo, 0x10000000, v[36:37]
	s_and_b32 s11, vcc_lo, exec_lo
	s_cselect_b32 s11, 0x100, 0
	v_ldexp_f64 v[36:37], v[36:37], s11
	s_cselect_b32 s11, 0xffffff80, 0
	s_cmp_lt_u32 s14, 15
	s_delay_alu instid0(VALU_DEP_1) | instskip(SKIP_1) | instid1(TRANS32_DEP_1)
	v_rsq_f64_e32 v[40:41], v[36:37]
	v_cmp_class_f64_e64 vcc_lo, v[36:37], 0x260
	v_mul_f64_e32 v[42:43], v[36:37], v[40:41]
	v_mul_f64_e32 v[40:41], 0.5, v[40:41]
	s_delay_alu instid0(VALU_DEP_1) | instskip(NEXT) | instid1(VALU_DEP_1)
	v_fma_f64 v[50:51], -v[40:41], v[42:43], 0.5
	v_fmac_f64_e32 v[42:43], v[42:43], v[50:51]
	v_fmac_f64_e32 v[40:41], v[40:41], v[50:51]
	s_delay_alu instid0(VALU_DEP_2) | instskip(NEXT) | instid1(VALU_DEP_1)
	v_fma_f64 v[52:53], -v[42:43], v[42:43], v[36:37]
	v_fmac_f64_e32 v[42:43], v[52:53], v[40:41]
	s_delay_alu instid0(VALU_DEP_1) | instskip(NEXT) | instid1(VALU_DEP_1)
	v_fma_f64 v[50:51], -v[42:43], v[42:43], v[36:37]
	v_fmac_f64_e32 v[42:43], v[50:51], v[40:41]
	s_delay_alu instid0(VALU_DEP_1) | instskip(SKIP_1) | instid1(VALU_DEP_1)
	v_ldexp_f64 v[40:41], v[42:43], s11
	s_cselect_b32 s11, -1, 0
	v_dual_cndmask_b32 v37, v41, v37 :: v_dual_cndmask_b32 v36, v40, v36
	s_delay_alu instid0(VALU_DEP_1) | instskip(SKIP_1) | instid1(SALU_CYCLE_1)
	v_cmp_le_f64_e32 vcc_lo, s[8:9], v[36:37]
	s_and_b32 s11, vcc_lo, s11
	s_and_not1_b32 vcc_lo, exec_lo, s11
	s_cbranch_vccnz .LBB1_73
; %bb.71:                               ;   in Loop: Header=BB1_64 Depth=1
	v_mov_b64_e32 v[36:37], v[38:39]
	v_mov_b64_e32 v[40:41], v[44:45]
	;; [unrolled: 1-line block ×3, first 2 shown]
	s_mov_b32 s14, s0
	s_branch .LBB1_64
.LBB1_72:
	v_mov_b64_e32 v[38:39], 0
	v_mov_b64_e32 v[44:45], 0
	v_mov_b64_e32 v[46:47], 1.0
.LBB1_73:
	s_delay_alu instid0(VALU_DEP_4)
	v_cmp_lt_f64_e32 vcc_lo, v[12:13], v[32:33]
	s_cbranch_vccz .LBB1_75
; %bb.74:
	v_mov_b64_e32 v[34:35], v[32:33]
	v_mov_b64_e32 v[30:31], v[28:29]
	;; [unrolled: 1-line block ×4, first 2 shown]
	s_delay_alu instid0(VALU_DEP_4)
	v_cmp_nlt_f64_e32 vcc_lo, v[34:35], v[18:19]
	s_cbranch_vccz .LBB1_76
	s_branch .LBB1_77
.LBB1_75:
	v_mov_b64_e32 v[34:35], v[12:13]
	v_mov_b64_e32 v[12:13], v[32:33]
	s_delay_alu instid0(VALU_DEP_4)
	v_mov_b64_e32 v[30:31], v[46:47]
	v_mov_b64_e32 v[46:47], v[28:29]
	;; [unrolled: 1-line block ×6, first 2 shown]
	v_cmp_nlt_f64_e32 vcc_lo, v[34:35], v[18:19]
	s_cbranch_vccnz .LBB1_77
.LBB1_76:
	v_mov_b64_e32 v[24:25], v[34:35]
	s_delay_alu instid0(VALU_DEP_3)
	v_mov_b64_e32 v[32:33], v[26:27]
	v_mov_b64_e32 v[26:27], v[30:31]
	;; [unrolled: 1-line block ×11, first 2 shown]
.LBB1_77:
	v_cmp_nlt_f64_e32 vcc_lo, v[12:13], v[18:19]
	s_cbranch_vccnz .LBB1_79
; %bb.78:
	v_mov_b64_e32 v[32:33], v[18:19]
	v_mov_b64_e32 v[24:25], v[22:23]
	v_mov_b64_e32 v[22:23], v[20:21]
	v_mov_b64_e32 v[18:19], v[16:17]
	s_branch .LBB1_80
.LBB1_79:
	v_mov_b64_e32 v[32:33], v[12:13]
	v_mov_b64_e32 v[12:13], v[18:19]
	;; [unrolled: 1-line block ×8, first 2 shown]
.LBB1_80:
	v_div_scale_f64 v[16:17], null, v[34:35], v[34:35], 1.0
	v_div_scale_f64 v[20:21], null, v[32:33], v[32:33], 1.0
	;; [unrolled: 1-line block ×3, first 2 shown]
	v_div_scale_f64 v[60:61], s1, 1.0, v[12:13], 1.0
	s_mov_b64 s[8:9], 0x3d719799812dea11
	v_mov_b32_e32 v1, 0
	v_rcp_f64_e32 v[36:37], v[16:17]
	v_rcp_f64_e32 v[40:41], v[20:21]
	;; [unrolled: 1-line block ×3, first 2 shown]
	s_delay_alu instid0(TRANS32_DEP_3) | instskip(NEXT) | instid1(TRANS32_DEP_2)
	v_fma_f64 v[48:49], -v[16:17], v[36:37], 1.0
	v_fma_f64 v[50:51], -v[20:21], v[40:41], 1.0
	s_delay_alu instid0(VALU_DEP_2) | instskip(NEXT) | instid1(TRANS32_DEP_1)
	v_fmac_f64_e32 v[36:37], v[36:37], v[48:49]
	v_fma_f64 v[48:49], -v[42:43], v[52:53], 1.0
	s_delay_alu instid0(VALU_DEP_3) | instskip(NEXT) | instid1(VALU_DEP_3)
	v_fmac_f64_e32 v[40:41], v[40:41], v[50:51]
	v_fma_f64 v[50:51], -v[16:17], v[36:37], 1.0
	s_delay_alu instid0(VALU_DEP_3) | instskip(SKIP_1) | instid1(VALU_DEP_4)
	v_fmac_f64_e32 v[52:53], v[52:53], v[48:49]
	v_div_scale_f64 v[48:49], vcc_lo, 1.0, v[34:35], 1.0
	v_fma_f64 v[54:55], -v[20:21], v[40:41], 1.0
	s_delay_alu instid0(VALU_DEP_4) | instskip(SKIP_1) | instid1(VALU_DEP_3)
	v_fmac_f64_e32 v[36:37], v[36:37], v[50:51]
	v_div_scale_f64 v[50:51], s0, 1.0, v[32:33], 1.0
	v_fmac_f64_e32 v[40:41], v[40:41], v[54:55]
	v_fma_f64 v[54:55], -v[42:43], v[52:53], 1.0
	s_delay_alu instid0(VALU_DEP_4) | instskip(NEXT) | instid1(VALU_DEP_3)
	v_mul_f64_e32 v[56:57], v[48:49], v[36:37]
	v_mul_f64_e32 v[58:59], v[50:51], v[40:41]
	s_delay_alu instid0(VALU_DEP_3) | instskip(NEXT) | instid1(VALU_DEP_3)
	v_fmac_f64_e32 v[52:53], v[52:53], v[54:55]
	v_fma_f64 v[16:17], -v[16:17], v[56:57], v[48:49]
	s_delay_alu instid0(VALU_DEP_2) | instskip(NEXT) | instid1(VALU_DEP_2)
	v_mul_f64_e32 v[48:49], v[60:61], v[52:53]
	v_div_fmas_f64 v[16:17], v[16:17], v[36:37], v[56:57]
	s_mov_b32 vcc_lo, s0
	v_cmp_nlt_f64_e64 s0, |v[32:33]|, s[8:9]
	s_delay_alu instid0(VALU_DEP_3) | instskip(NEXT) | instid1(VALU_DEP_3)
	v_fma_f64 v[36:37], -v[42:43], v[48:49], v[60:61]
	v_div_fixup_f64 v[16:17], v[16:17], v[34:35], 1.0
	v_fma_f64 v[20:21], -v[20:21], v[58:59], v[50:51]
	s_delay_alu instid0(VALU_DEP_1) | instskip(SKIP_1) | instid1(VALU_DEP_1)
	v_div_fmas_f64 v[20:21], v[20:21], v[40:41], v[58:59]
	s_mov_b32 vcc_lo, s1
	v_div_fixup_f64 v[20:21], v[20:21], v[32:33], 1.0
	v_div_fmas_f64 v[32:33], v[36:37], v[52:53], v[48:49]
	v_cmp_nlt_f64_e64 vcc_lo, |v[34:35]|, s[8:9]
	s_delay_alu instid0(VALU_DEP_3) | instskip(NEXT) | instid1(VALU_DEP_3)
	v_dual_cndmask_b32 v21, 0, v21, s0 :: v_dual_cndmask_b32 v20, 0, v20, s0
	v_div_fixup_f64 v[32:33], v[32:33], v[12:13], 1.0
	v_cmp_nlt_f64_e64 s0, |v[12:13]|, s[8:9]
	v_cndmask_b32_e32 v13, 0, v17, vcc_lo
	s_delay_alu instid0(VALU_DEP_4) | instskip(SKIP_1) | instid1(VALU_DEP_4)
	v_mul_f64_e32 v[34:35], v[24:25], v[20:21]
	v_dual_mul_f64 v[40:41], v[20:21], v[22:23] :: v_dual_cndmask_b32 v12, 0, v16, vcc_lo
	v_dual_mul_f64 v[20:21], v[20:21], v[18:19] :: v_dual_cndmask_b32 v33, 0, v33, s0
	s_delay_alu instid0(VALU_DEP_3) | instskip(SKIP_1) | instid1(VALU_DEP_4)
	v_dual_mul_f64 v[24:25], v[24:25], v[34:35] :: v_dual_cndmask_b32 v32, 0, v32, s0
	v_mul_f64_e32 v[36:37], v[34:35], v[22:23]
	v_mul_f64_e32 v[16:17], v[30:31], v[12:13]
	s_delay_alu instid0(VALU_DEP_3)
	v_mul_f64_e32 v[48:49], v[46:47], v[32:33]
	v_mul_f64_e32 v[34:35], v[34:35], v[18:19]
	v_mul_f64_e32 v[42:43], v[12:13], v[28:29]
	v_mul_f64_e32 v[50:51], v[40:41], v[18:19]
	v_mul_f64_e32 v[52:53], v[32:33], v[44:45]
	v_mul_f64_e32 v[22:23], v[22:23], v[40:41]
	v_mul_f64_e32 v[12:13], v[12:13], v[26:27]
	v_mul_f64_e32 v[20:21], v[18:19], v[20:21]
	v_fmac_f64_e32 v[36:37], v[16:17], v[28:29]
	v_fmac_f64_e32 v[24:25], v[30:31], v[16:17]
	;; [unrolled: 1-line block ×3, first 2 shown]
	v_mul_f64_e32 v[30:31], v[32:33], v[38:39]
	v_fmac_f64_e32 v[50:51], v[42:43], v[26:27]
	v_fmac_f64_e32 v[22:23], v[28:29], v[42:43]
	v_fmac_f64_e32 v[20:21], v[26:27], v[12:13]
	v_fmac_f64_e32 v[36:37], v[48:49], v[44:45]
	v_fmac_f64_e32 v[24:25], v[46:47], v[48:49]
	v_fmac_f64_e32 v[34:35], v[48:49], v[38:39]
	v_fmac_f64_e32 v[50:51], v[52:53], v[38:39]
	v_fmac_f64_e32 v[22:23], v[44:45], v[52:53]
	v_fmac_f64_e32 v[20:21], v[38:39], v[30:31]
	v_mul_f64_e32 v[16:17], v[4:5], v[36:37]
	v_mul_f64_e32 v[18:19], v[8:9], v[34:35]
	;; [unrolled: 1-line block ×4, first 2 shown]
	s_delay_alu instid0(VALU_DEP_4)
	v_fmac_f64_e32 v[16:17], v[2:3], v[24:25]
	v_mul_f64_e32 v[2:3], v[10:11], v[34:35]
	v_fmac_f64_e32 v[18:19], v[6:7], v[36:37]
	v_mul_f64_e32 v[10:11], v[10:11], v[20:21]
	v_fmac_f64_e32 v[4:5], v[6:7], v[22:23]
	v_fmac_f64_e32 v[16:17], v[14:15], v[34:35]
	ds_store_b128 v1, v[16:19] offset:2144
	ds_store_b128 v1, v[2:5] offset:2160
	;; [unrolled: 1-line block ×3, first 2 shown]
.LBB1_81:
	s_or_b32 exec_lo, exec_lo, s13
	s_wait_dscnt 0x0
	s_barrier_signal -1
	s_barrier_wait -1
	s_and_saveexec_b32 s0, s2
	s_cbranch_execz .LBB1_83
; %bb.82:
	v_lshlrev_b32_e32 v1, 3, v0
	v_lshl_or_b32 v0, s3, 4, v0
	ds_load_b64 v[2:3], v1 offset:2096
	s_wait_dscnt 0x0
	global_store_b64 v0, v[2:3], s[6:7] scale_offset
.LBB1_83:
	s_wait_xcnt 0x0
	s_or_b32 exec_lo, exec_lo, s0
	s_and_not1_saveexec_b32 s0, s12
	s_cbranch_execz .LBB1_30
.LBB1_84:
	v_dual_mov_b32 v0, 1 :: v_dual_mov_b32 v1, s3
	global_store_b32 v1, v0, s[4:5] scale_offset
	s_sendmsg sendmsg(MSG_DEALLOC_VGPRS)
	s_endpgm
	.section	.rodata,"a",@progbits
	.p2align	6, 0x0
	.amdhsa_kernel _Z18prepare_svd_kernelILi256E9PayoffPutEviiT0_PKdPiPd
		.amdhsa_group_segment_fixed_size 2192
		.amdhsa_private_segment_fixed_size 0
		.amdhsa_kernarg_size 40
		.amdhsa_user_sgpr_count 2
		.amdhsa_user_sgpr_dispatch_ptr 0
		.amdhsa_user_sgpr_queue_ptr 0
		.amdhsa_user_sgpr_kernarg_segment_ptr 1
		.amdhsa_user_sgpr_dispatch_id 0
		.amdhsa_user_sgpr_kernarg_preload_length 0
		.amdhsa_user_sgpr_kernarg_preload_offset 0
		.amdhsa_user_sgpr_private_segment_size 0
		.amdhsa_wavefront_size32 1
		.amdhsa_uses_dynamic_stack 0
		.amdhsa_enable_private_segment 0
		.amdhsa_system_sgpr_workgroup_id_x 1
		.amdhsa_system_sgpr_workgroup_id_y 0
		.amdhsa_system_sgpr_workgroup_id_z 0
		.amdhsa_system_sgpr_workgroup_info 0
		.amdhsa_system_vgpr_workitem_id 0
		.amdhsa_next_free_vgpr 74
		.amdhsa_next_free_sgpr 21
		.amdhsa_named_barrier_count 0
		.amdhsa_reserve_vcc 1
		.amdhsa_float_round_mode_32 0
		.amdhsa_float_round_mode_16_64 0
		.amdhsa_float_denorm_mode_32 3
		.amdhsa_float_denorm_mode_16_64 3
		.amdhsa_fp16_overflow 0
		.amdhsa_memory_ordered 1
		.amdhsa_forward_progress 1
		.amdhsa_inst_pref_size 60
		.amdhsa_round_robin_scheduling 0
		.amdhsa_exception_fp_ieee_invalid_op 0
		.amdhsa_exception_fp_denorm_src 0
		.amdhsa_exception_fp_ieee_div_zero 0
		.amdhsa_exception_fp_ieee_overflow 0
		.amdhsa_exception_fp_ieee_underflow 0
		.amdhsa_exception_fp_ieee_inexact 0
		.amdhsa_exception_int_div_zero 0
	.end_amdhsa_kernel
	.section	.text._Z18prepare_svd_kernelILi256E9PayoffPutEviiT0_PKdPiPd,"axG",@progbits,_Z18prepare_svd_kernelILi256E9PayoffPutEviiT0_PKdPiPd,comdat
.Lfunc_end1:
	.size	_Z18prepare_svd_kernelILi256E9PayoffPutEviiT0_PKdPiPd, .Lfunc_end1-_Z18prepare_svd_kernelILi256E9PayoffPutEviiT0_PKdPiPd
                                        ; -- End function
	.set _Z18prepare_svd_kernelILi256E9PayoffPutEviiT0_PKdPiPd.num_vgpr, 74
	.set _Z18prepare_svd_kernelILi256E9PayoffPutEviiT0_PKdPiPd.num_agpr, 0
	.set _Z18prepare_svd_kernelILi256E9PayoffPutEviiT0_PKdPiPd.numbered_sgpr, 21
	.set _Z18prepare_svd_kernelILi256E9PayoffPutEviiT0_PKdPiPd.num_named_barrier, 0
	.set _Z18prepare_svd_kernelILi256E9PayoffPutEviiT0_PKdPiPd.private_seg_size, 0
	.set _Z18prepare_svd_kernelILi256E9PayoffPutEviiT0_PKdPiPd.uses_vcc, 1
	.set _Z18prepare_svd_kernelILi256E9PayoffPutEviiT0_PKdPiPd.uses_flat_scratch, 0
	.set _Z18prepare_svd_kernelILi256E9PayoffPutEviiT0_PKdPiPd.has_dyn_sized_stack, 0
	.set _Z18prepare_svd_kernelILi256E9PayoffPutEviiT0_PKdPiPd.has_recursion, 0
	.set _Z18prepare_svd_kernelILi256E9PayoffPutEviiT0_PKdPiPd.has_indirect_call, 0
	.section	.AMDGPU.csdata,"",@progbits
; Kernel info:
; codeLenInByte = 7624
; TotalNumSgprs: 23
; NumVgprs: 74
; ScratchSize: 0
; MemoryBound: 0
; FloatMode: 240
; IeeeMode: 1
; LDSByteSize: 2192 bytes/workgroup (compile time only)
; SGPRBlocks: 0
; VGPRBlocks: 4
; NumSGPRsForWavesPerEU: 23
; NumVGPRsForWavesPerEU: 74
; NamedBarCnt: 0
; Occupancy: 12
; WaveLimiterHint : 0
; COMPUTE_PGM_RSRC2:SCRATCH_EN: 0
; COMPUTE_PGM_RSRC2:USER_SGPR: 2
; COMPUTE_PGM_RSRC2:TRAP_HANDLER: 0
; COMPUTE_PGM_RSRC2:TGID_X_EN: 1
; COMPUTE_PGM_RSRC2:TGID_Y_EN: 0
; COMPUTE_PGM_RSRC2:TGID_Z_EN: 0
; COMPUTE_PGM_RSRC2:TIDIG_COMP_CNT: 0
	.section	.text._Z27compute_partial_beta_kernelILi128E9PayoffPutEviT0_PKdS3_S3_PKiPd,"axG",@progbits,_Z27compute_partial_beta_kernelILi128E9PayoffPutEviT0_PKdS3_S3_PKiPd,comdat
	.protected	_Z27compute_partial_beta_kernelILi128E9PayoffPutEviT0_PKdS3_S3_PKiPd ; -- Begin function _Z27compute_partial_beta_kernelILi128E9PayoffPutEviT0_PKdS3_S3_PKiPd
	.globl	_Z27compute_partial_beta_kernelILi128E9PayoffPutEviT0_PKdS3_S3_PKiPd
	.p2align	8
	.type	_Z27compute_partial_beta_kernelILi128E9PayoffPutEviT0_PKdS3_S3_PKiPd,@function
_Z27compute_partial_beta_kernelILi128E9PayoffPutEviT0_PKdS3_S3_PKiPd: ; @_Z27compute_partial_beta_kernelILi128E9PayoffPutEviT0_PKdS3_S3_PKiPd
; %bb.0:
	s_load_b64 s[2:3], s[0:1], 0x28
	s_wait_kmcnt 0x0
	s_load_b32 s2, s[2:3], 0x0
	s_wait_kmcnt 0x0
	s_cmp_lg_u32 s2, 0
	s_cbranch_scc0 .LBB2_2
.LBB2_1:
	s_endpgm
.LBB2_2:
	s_mov_b32 s2, exec_lo
	v_cmpx_gt_u32_e32 12, v0
	s_cbranch_execz .LBB2_4
; %bb.3:
	s_load_b64 s[4:5], s[0:1], 0x10
	v_lshlrev_b32_e32 v1, 3, v0
	s_wait_kmcnt 0x0
	global_load_b64 v[2:3], v0, s[4:5] scale_offset
	s_wait_loadcnt 0x0
	ds_store_b64 v1, v[2:3]
.LBB2_4:
	s_or_b32 exec_lo, exec_lo, s2
	s_clause 0x1
	s_load_b32 s13, s[0:1], 0x0
	s_load_b64 s[8:9], s[0:1], 0x30
	s_bfe_u32 s2, ttmp6, 0x4000c
	s_and_b32 s3, ttmp6, 15
	s_add_co_i32 s2, s2, 1
	s_getreg_b32 s4, hwreg(HW_REG_IB_STS2, 6, 4)
	s_mul_i32 s2, ttmp9, s2
	v_mov_b64_e32 v[18:19], 0
	s_add_co_i32 s3, s3, s2
	s_cmp_eq_u32 s4, 0
	v_mov_b64_e32 v[16:17], 0
	s_cselect_b32 s12, ttmp9, s3
	v_mov_b64_e32 v[2:3], 0
	v_lshl_or_b32 v14, s12, 7, v0
	s_mov_b32 s15, 0
	s_mov_b32 s14, exec_lo
	s_wait_dscnt 0x0
	s_barrier_signal -1
	s_barrier_wait -1
	s_wait_kmcnt 0x0
	v_cmpx_gt_i32_e64 s13, v14
	s_cbranch_execz .LBB2_10
; %bb.5:
	v_mov_b32_e32 v1, 0
	ds_load_b128 v[6:9], v1
	ds_load_b128 v[10:13], v1 offset:16
	ds_load_b128 v[16:19], v1 offset:32
	s_load_b32 s10, s[0:1], 0x38
	v_ashrrev_i32_e32 v15, 31, v14
	s_wait_dscnt 0x2
	v_div_scale_f64 v[20:21], null, v[6:7], v[6:7], 1.0
	s_wait_dscnt 0x0
	v_div_scale_f64 v[24:25], null, v[18:19], v[18:19], 1.0
	v_div_scale_f64 v[22:23], null, v[12:13], v[12:13], 1.0
	v_div_scale_f64 v[38:39], vcc_lo, 1.0, v[6:7], 1.0
	s_delay_alu instid0(VALU_DEP_4) | instskip(NEXT) | instid1(VALU_DEP_3)
	v_rcp_f64_e32 v[26:27], v[20:21]
	v_rcp_f64_e32 v[30:31], v[24:25]
	s_delay_alu instid0(VALU_DEP_2) | instskip(NEXT) | instid1(TRANS32_DEP_3)
	v_rcp_f64_e32 v[28:29], v[22:23]
	v_fma_f64 v[32:33], -v[20:21], v[26:27], 1.0
	s_delay_alu instid0(TRANS32_DEP_2) | instskip(NEXT) | instid1(TRANS32_DEP_1)
	v_fma_f64 v[36:37], -v[24:25], v[30:31], 1.0
	v_fma_f64 v[34:35], -v[22:23], v[28:29], 1.0
	s_delay_alu instid0(VALU_DEP_3) | instskip(NEXT) | instid1(VALU_DEP_3)
	v_fmac_f64_e32 v[26:27], v[26:27], v[32:33]
	v_fmac_f64_e32 v[30:31], v[30:31], v[36:37]
	s_delay_alu instid0(VALU_DEP_3) | instskip(NEXT) | instid1(VALU_DEP_3)
	v_fmac_f64_e32 v[28:29], v[28:29], v[34:35]
	v_fma_f64 v[32:33], -v[20:21], v[26:27], 1.0
	s_delay_alu instid0(VALU_DEP_3) | instskip(NEXT) | instid1(VALU_DEP_3)
	v_fma_f64 v[36:37], -v[24:25], v[30:31], 1.0
	v_fma_f64 v[34:35], -v[22:23], v[28:29], 1.0
	s_delay_alu instid0(VALU_DEP_3) | instskip(SKIP_1) | instid1(VALU_DEP_4)
	v_fmac_f64_e32 v[26:27], v[26:27], v[32:33]
	v_div_scale_f64 v[32:33], s2, 1.0, v[12:13], 1.0
	v_fmac_f64_e32 v[30:31], v[30:31], v[36:37]
	s_delay_alu instid0(VALU_DEP_4) | instskip(SKIP_4) | instid1(VALU_DEP_1)
	v_fmac_f64_e32 v[28:29], v[28:29], v[34:35]
	v_div_scale_f64 v[34:35], s3, 1.0, v[18:19], 1.0
	v_mul_f64_e32 v[36:37], v[38:39], v[26:27]
	ds_load_b128 v[2:5], v1 offset:48
	v_fma_f64 v[20:21], -v[20:21], v[36:37], v[38:39]
	v_div_fmas_f64 v[20:21], v[20:21], v[26:27], v[36:37]
	s_mov_b32 vcc_lo, s2
	v_cmp_neq_f64_e64 s2, 0, v[12:13]
	v_mul_f64_e32 v[40:41], v[32:33], v[28:29]
	s_delay_alu instid0(VALU_DEP_3) | instskip(SKIP_1) | instid1(VALU_DEP_3)
	v_div_fixup_f64 v[20:21], v[20:21], v[6:7], 1.0
	v_mul_f64_e32 v[42:43], v[34:35], v[30:31]
	v_fma_f64 v[22:23], -v[22:23], v[40:41], v[32:33]
	v_lshlrev_b64_e32 v[32:33], 3, v[14:15]
	s_delay_alu instid0(VALU_DEP_3) | instskip(NEXT) | instid1(VALU_DEP_3)
	v_fma_f64 v[24:25], -v[24:25], v[42:43], v[34:35]
	v_div_fmas_f64 v[22:23], v[22:23], v[28:29], v[40:41]
	s_mov_b32 vcc_lo, s3
	v_cmp_neq_f64_e64 s3, 0, v[18:19]
	s_delay_alu instid0(VALU_DEP_3) | instskip(SKIP_1) | instid1(VALU_DEP_4)
	v_div_fmas_f64 v[24:25], v[24:25], v[30:31], v[42:43]
	v_cmp_neq_f64_e32 vcc_lo, 0, v[6:7]
	v_div_fixup_f64 v[6:7], v[22:23], v[12:13], 1.0
	s_delay_alu instid0(VALU_DEP_3) | instskip(SKIP_1) | instid1(VALU_DEP_3)
	v_div_fixup_f64 v[12:13], v[24:25], v[18:19], 1.0
	v_dual_cndmask_b32 v19, 0, v21 :: v_dual_cndmask_b32 v18, 0, v20
	v_dual_cndmask_b32 v21, 0, v7, s2 :: v_dual_cndmask_b32 v20, 0, v6, s2
	s_wait_dscnt 0x0
	s_delay_alu instid0(VALU_DEP_2) | instskip(SKIP_1) | instid1(VALU_DEP_3)
	v_mul_f64_e32 v[30:31], v[18:19], v[2:3]
	v_mov_b64_e32 v[2:3], 0
	v_mul_f64_e32 v[6:7], v[18:19], v[20:21]
	v_dual_cndmask_b32 v23, 0, v13, s3 :: v_dual_cndmask_b32 v22, 0, v12, s3
	s_delay_alu instid0(VALU_DEP_1)
	v_mul_f64_e32 v[12:13], v[18:19], v[22:23]
	v_mul_f64_e32 v[24:25], v[16:17], v[22:23]
	v_mov_b64_e32 v[18:19], 0
	v_mul_f64_e32 v[26:27], v[8:9], v[6:7]
	v_mov_b64_e32 v[16:17], 0
	v_mul_f64_e32 v[28:29], v[10:11], v[12:13]
	ds_load_b128 v[6:9], v1 offset:64
	ds_load_b128 v[10:13], v1 offset:80
	s_clause 0x1
	s_load_b128 s[4:7], s[0:1], 0x18
	s_load_b64 s[2:3], s[0:1], 0x8
	s_wait_kmcnt 0x0
	s_lshl_b32 s0, s10, 7
	s_delay_alu instid0(SALU_CYCLE_1) | instskip(NEXT) | instid1(SALU_CYCLE_1)
	s_ashr_i32 s1, s0, 31
	s_lshl_b64 s[10:11], s[0:1], 3
	s_branch .LBB2_7
.LBB2_6:                                ;   in Loop: Header=BB2_7 Depth=1
	s_wait_xcnt 0x0
	s_or_b32 exec_lo, exec_lo, s1
	v_dual_mul_f64 v[38:39], v[22:23], v[36:37] :: v_dual_add_nc_u32 v14, s0, v14
	v_fma_f64 v[40:41], v[20:21], v[36:37], -v[26:27]
	v_add_nc_u64_e32 v[32:33], s[10:11], v[32:33]
	s_delay_alu instid0(VALU_DEP_3) | instskip(SKIP_1) | instid1(VALU_DEP_4)
	v_cmp_le_i32_e32 vcc_lo, s13, v14
	s_or_b32 s15, vcc_lo, s15
	v_fma_f64 v[36:37], v[36:37], v[38:39], -v[28:29]
	s_delay_alu instid0(VALU_DEP_4) | instskip(NEXT) | instid1(VALU_DEP_2)
	v_fma_f64 v[38:39], v[4:5], v[40:41], v[30:31]
	v_fma_f64 v[36:37], -v[24:25], v[40:41], v[36:37]
	s_wait_dscnt 0x0
	s_delay_alu instid0(VALU_DEP_1) | instskip(NEXT) | instid1(VALU_DEP_3)
	v_mul_f64_e32 v[42:43], v[10:11], v[36:37]
	v_fmac_f64_e32 v[38:39], v[6:7], v[36:37]
	v_mul_f64_e32 v[36:37], v[12:13], v[36:37]
	s_delay_alu instid0(VALU_DEP_3) | instskip(SKIP_1) | instid1(VALU_DEP_3)
	v_fmac_f64_e32 v[42:43], v[8:9], v[40:41]
	s_wait_loadcnt 0x0
	v_fmac_f64_e32 v[18:19], v[38:39], v[34:35]
	s_delay_alu instid0(VALU_DEP_3) | instskip(NEXT) | instid1(VALU_DEP_3)
	v_fmac_f64_e32 v[2:3], v[36:37], v[34:35]
	v_fmac_f64_e32 v[16:17], v[42:43], v[34:35]
	s_and_not1_b32 exec_lo, exec_lo, s15
	s_cbranch_execz .LBB2_9
.LBB2_7:                                ; =>This Inner Loop Header: Depth=1
	v_add_nc_u64_e32 v[34:35], s[4:5], v[32:33]
	s_mov_b32 s1, exec_lo
	global_load_b64 v[36:37], v[34:35], off
	s_wait_xcnt 0x0
	v_mov_b64_e32 v[34:35], 0
	s_wait_loadcnt 0x0
	v_cmpx_gt_f64_e32 s[2:3], v[36:37]
	s_cbranch_execz .LBB2_6
; %bb.8:                                ;   in Loop: Header=BB2_7 Depth=1
	v_add_nc_u64_e32 v[34:35], s[6:7], v[32:33]
	global_load_b64 v[34:35], v[34:35], off
	s_branch .LBB2_6
.LBB2_9:
	s_or_b32 exec_lo, exec_lo, s15
.LBB2_10:
	s_delay_alu instid0(SALU_CYCLE_1)
	s_or_b32 exec_lo, exec_lo, s14
	v_cmp_eq_u32_e32 vcc_lo, 0, v0
	s_and_saveexec_b32 s0, vcc_lo
	s_cbranch_execz .LBB2_12
; %bb.11:
	v_mov_b32_e32 v4, 0
	v_mov_b64_e32 v[0:1], 0
	s_delay_alu instid0(VALU_DEP_2)
	v_dual_mov_b32 v5, v4 :: v_dual_mov_b32 v6, v4
	v_mov_b32_e32 v7, v4
	ds_store_b128 v4, v[4:7] offset:96
	ds_store_b64 v4, v[0:1] offset:112
.LBB2_12:
	s_or_b32 exec_lo, exec_lo, s0
	v_mov_b64_e32 v[0:1], 0x8000000000000000
	s_mov_b32 s0, exec_lo
	s_wait_dscnt 0x0
	s_barrier_signal -1
	s_barrier_wait -1
.LBB2_13:                               ; =>This Inner Loop Header: Depth=1
	s_ctz_i32_b32 s1, s0
	s_delay_alu instid0(SALU_CYCLE_1) | instskip(SKIP_2) | instid1(SALU_CYCLE_1)
	v_readlane_b32 s3, v19, s1
	v_readlane_b32 s2, v18, s1
	s_lshl_b32 s1, 1, s1
	s_and_not1_b32 s0, s0, s1
	v_add_f64_e32 v[0:1], s[2:3], v[0:1]
	s_cmp_lg_u32 s0, 0
	s_cbranch_scc1 .LBB2_13
; %bb.14:
	v_mbcnt_lo_u32_b32 v4, exec_lo, 0
	s_delay_alu instid0(VALU_DEP_1) | instskip(SKIP_1) | instid1(SALU_CYCLE_1)
	v_cmp_eq_u32_e64 s0, 0, v4
	s_and_saveexec_b32 s1, s0
	s_xor_b32 s0, exec_lo, s1
; %bb.15:
	v_mov_b32_e32 v4, 0
	ds_add_f64 v4, v[0:1] offset:96
; %bb.16:
	s_or_b32 exec_lo, exec_lo, s0
	v_mov_b64_e32 v[0:1], 0x8000000000000000
	s_mov_b32 s0, exec_lo
.LBB2_17:                               ; =>This Inner Loop Header: Depth=1
	s_delay_alu instid0(SALU_CYCLE_1) | instskip(NEXT) | instid1(SALU_CYCLE_1)
	s_ctz_i32_b32 s1, s0
	v_readlane_b32 s3, v17, s1
	v_readlane_b32 s2, v16, s1
	s_lshl_b32 s1, 1, s1
	s_delay_alu instid0(SALU_CYCLE_1)
	s_and_not1_b32 s0, s0, s1
	v_add_f64_e32 v[0:1], s[2:3], v[0:1]
	s_cmp_lg_u32 s0, 0
	s_cbranch_scc1 .LBB2_17
; %bb.18:
	v_mbcnt_lo_u32_b32 v4, exec_lo, 0
	s_delay_alu instid0(VALU_DEP_1) | instskip(SKIP_1) | instid1(SALU_CYCLE_1)
	v_cmp_eq_u32_e64 s0, 0, v4
	s_and_saveexec_b32 s1, s0
	s_xor_b32 s0, exec_lo, s1
; %bb.19:
	v_mov_b32_e32 v4, 0
	ds_add_f64 v4, v[0:1] offset:104
; %bb.20:
	s_or_b32 exec_lo, exec_lo, s0
	v_mov_b64_e32 v[0:1], 0x8000000000000000
	s_mov_b32 s0, exec_lo
.LBB2_21:                               ; =>This Inner Loop Header: Depth=1
	s_delay_alu instid0(SALU_CYCLE_1) | instskip(NEXT) | instid1(SALU_CYCLE_1)
	s_ctz_i32_b32 s1, s0
	v_readlane_b32 s3, v3, s1
	v_readlane_b32 s2, v2, s1
	s_lshl_b32 s1, 1, s1
	s_delay_alu instid0(SALU_CYCLE_1)
	s_and_not1_b32 s0, s0, s1
	v_add_f64_e32 v[0:1], s[2:3], v[0:1]
	s_cmp_lg_u32 s0, 0
	s_cbranch_scc1 .LBB2_21
; %bb.22:
	v_mbcnt_lo_u32_b32 v2, exec_lo, 0
	s_delay_alu instid0(VALU_DEP_1) | instskip(SKIP_1) | instid1(SALU_CYCLE_1)
	v_cmp_eq_u32_e64 s0, 0, v2
	s_and_saveexec_b32 s1, s0
	s_xor_b32 s0, exec_lo, s1
; %bb.23:
	v_mov_b32_e32 v2, 0
	ds_add_f64 v2, v[0:1] offset:112
; %bb.24:
	s_or_b32 exec_lo, exec_lo, s0
	s_wait_dscnt 0x0
	s_barrier_signal -1
	s_barrier_wait -1
	s_and_saveexec_b32 s0, vcc_lo
	s_cbranch_execz .LBB2_1
; %bb.25:
	v_dual_mov_b32 v4, 0 :: v_dual_mov_b32 v6, s12
	s_add_co_i32 s0, s12, 0x80
	s_add_co_i32 s1, s12, 0x100
	s_delay_alu instid0(SALU_CYCLE_1)
	v_dual_mov_b32 v7, s0 :: v_dual_mov_b32 v8, s1
	ds_load_b128 v[0:3], v4 offset:96
	ds_load_b64 v[4:5], v4 offset:112
	s_wait_dscnt 0x1
	s_clause 0x1
	global_store_b64 v6, v[0:1], s[8:9] scale_offset
	global_store_b64 v7, v[2:3], s[8:9] scale_offset
	s_wait_dscnt 0x0
	global_store_b64 v8, v[4:5], s[8:9] scale_offset
	s_endpgm
	.section	.rodata,"a",@progbits
	.p2align	6, 0x0
	.amdhsa_kernel _Z27compute_partial_beta_kernelILi128E9PayoffPutEviT0_PKdS3_S3_PKiPd
		.amdhsa_group_segment_fixed_size 120
		.amdhsa_private_segment_fixed_size 0
		.amdhsa_kernarg_size 312
		.amdhsa_user_sgpr_count 2
		.amdhsa_user_sgpr_dispatch_ptr 0
		.amdhsa_user_sgpr_queue_ptr 0
		.amdhsa_user_sgpr_kernarg_segment_ptr 1
		.amdhsa_user_sgpr_dispatch_id 0
		.amdhsa_user_sgpr_kernarg_preload_length 0
		.amdhsa_user_sgpr_kernarg_preload_offset 0
		.amdhsa_user_sgpr_private_segment_size 0
		.amdhsa_wavefront_size32 1
		.amdhsa_uses_dynamic_stack 0
		.amdhsa_enable_private_segment 0
		.amdhsa_system_sgpr_workgroup_id_x 1
		.amdhsa_system_sgpr_workgroup_id_y 0
		.amdhsa_system_sgpr_workgroup_id_z 0
		.amdhsa_system_sgpr_workgroup_info 0
		.amdhsa_system_vgpr_workitem_id 0
		.amdhsa_next_free_vgpr 44
		.amdhsa_next_free_sgpr 16
		.amdhsa_named_barrier_count 0
		.amdhsa_reserve_vcc 1
		.amdhsa_float_round_mode_32 0
		.amdhsa_float_round_mode_16_64 0
		.amdhsa_float_denorm_mode_32 3
		.amdhsa_float_denorm_mode_16_64 3
		.amdhsa_fp16_overflow 0
		.amdhsa_memory_ordered 1
		.amdhsa_forward_progress 1
		.amdhsa_inst_pref_size 12
		.amdhsa_round_robin_scheduling 0
		.amdhsa_exception_fp_ieee_invalid_op 0
		.amdhsa_exception_fp_denorm_src 0
		.amdhsa_exception_fp_ieee_div_zero 0
		.amdhsa_exception_fp_ieee_overflow 0
		.amdhsa_exception_fp_ieee_underflow 0
		.amdhsa_exception_fp_ieee_inexact 0
		.amdhsa_exception_int_div_zero 0
	.end_amdhsa_kernel
	.section	.text._Z27compute_partial_beta_kernelILi128E9PayoffPutEviT0_PKdS3_S3_PKiPd,"axG",@progbits,_Z27compute_partial_beta_kernelILi128E9PayoffPutEviT0_PKdS3_S3_PKiPd,comdat
.Lfunc_end2:
	.size	_Z27compute_partial_beta_kernelILi128E9PayoffPutEviT0_PKdS3_S3_PKiPd, .Lfunc_end2-_Z27compute_partial_beta_kernelILi128E9PayoffPutEviT0_PKdS3_S3_PKiPd
                                        ; -- End function
	.set _Z27compute_partial_beta_kernelILi128E9PayoffPutEviT0_PKdS3_S3_PKiPd.num_vgpr, 44
	.set _Z27compute_partial_beta_kernelILi128E9PayoffPutEviT0_PKdS3_S3_PKiPd.num_agpr, 0
	.set _Z27compute_partial_beta_kernelILi128E9PayoffPutEviT0_PKdS3_S3_PKiPd.numbered_sgpr, 16
	.set _Z27compute_partial_beta_kernelILi128E9PayoffPutEviT0_PKdS3_S3_PKiPd.num_named_barrier, 0
	.set _Z27compute_partial_beta_kernelILi128E9PayoffPutEviT0_PKdS3_S3_PKiPd.private_seg_size, 0
	.set _Z27compute_partial_beta_kernelILi128E9PayoffPutEviT0_PKdS3_S3_PKiPd.uses_vcc, 1
	.set _Z27compute_partial_beta_kernelILi128E9PayoffPutEviT0_PKdS3_S3_PKiPd.uses_flat_scratch, 0
	.set _Z27compute_partial_beta_kernelILi128E9PayoffPutEviT0_PKdS3_S3_PKiPd.has_dyn_sized_stack, 0
	.set _Z27compute_partial_beta_kernelILi128E9PayoffPutEviT0_PKdS3_S3_PKiPd.has_recursion, 0
	.set _Z27compute_partial_beta_kernelILi128E9PayoffPutEviT0_PKdS3_S3_PKiPd.has_indirect_call, 0
	.section	.AMDGPU.csdata,"",@progbits
; Kernel info:
; codeLenInByte = 1412
; TotalNumSgprs: 18
; NumVgprs: 44
; ScratchSize: 0
; MemoryBound: 0
; FloatMode: 240
; IeeeMode: 1
; LDSByteSize: 120 bytes/workgroup (compile time only)
; SGPRBlocks: 0
; VGPRBlocks: 2
; NumSGPRsForWavesPerEU: 18
; NumVGPRsForWavesPerEU: 44
; NamedBarCnt: 0
; Occupancy: 16
; WaveLimiterHint : 0
; COMPUTE_PGM_RSRC2:SCRATCH_EN: 0
; COMPUTE_PGM_RSRC2:USER_SGPR: 2
; COMPUTE_PGM_RSRC2:TRAP_HANDLER: 0
; COMPUTE_PGM_RSRC2:TGID_X_EN: 1
; COMPUTE_PGM_RSRC2:TGID_Y_EN: 0
; COMPUTE_PGM_RSRC2:TGID_Z_EN: 0
; COMPUTE_PGM_RSRC2:TIDIG_COMP_CNT: 0
	.section	.text._Z25compute_final_beta_kernelILi128EEvPKiPd,"axG",@progbits,_Z25compute_final_beta_kernelILi128EEvPKiPd,comdat
	.protected	_Z25compute_final_beta_kernelILi128EEvPKiPd ; -- Begin function _Z25compute_final_beta_kernelILi128EEvPKiPd
	.globl	_Z25compute_final_beta_kernelILi128EEvPKiPd
	.p2align	8
	.type	_Z25compute_final_beta_kernelILi128EEvPKiPd,@function
_Z25compute_final_beta_kernelILi128EEvPKiPd: ; @_Z25compute_final_beta_kernelILi128EEvPKiPd
; %bb.0:
	s_load_b128 s[0:3], s[0:1], 0x0
	s_wait_kmcnt 0x0
	s_load_b32 s0, s[0:1], 0x0
	s_wait_kmcnt 0x0
	s_cmp_eq_u32 s0, 0
	s_cbranch_scc1 .LBB3_5
; %bb.1:
	s_mov_b32 s0, exec_lo
	v_cmpx_gt_u32_e32 3, v0
	s_cbranch_execz .LBB3_3
; %bb.2:
	v_mov_b64_e32 v[2:3], 0
	global_store_b64 v0, v[2:3], s[2:3] scale_offset
.LBB3_3:
	s_wait_xcnt 0x0
	s_or_b32 exec_lo, exec_lo, s0
	s_cbranch_execz .LBB3_6
.LBB3_4:
	s_endpgm
.LBB3_5:
.LBB3_6:
	s_clause 0x2
	global_load_b64 v[6:7], v0, s[2:3] scale_offset
	global_load_b64 v[4:5], v0, s[2:3] offset:1024 scale_offset
	global_load_b64 v[2:3], v0, s[2:3] offset:2048 scale_offset
	v_cmp_eq_u32_e32 vcc_lo, 0, v0
	s_wait_xcnt 0x0
	s_and_saveexec_b32 s0, vcc_lo
	s_cbranch_execz .LBB3_8
; %bb.7:
	v_mov_b32_e32 v8, 0
	v_mov_b64_e32 v[0:1], 0
	s_delay_alu instid0(VALU_DEP_2)
	v_dual_mov_b32 v9, v8 :: v_dual_mov_b32 v10, v8
	v_mov_b32_e32 v11, v8
	ds_store_b128 v8, v[8:11]
	ds_store_b64 v8, v[0:1] offset:16
.LBB3_8:
	s_or_b32 exec_lo, exec_lo, s0
	v_mov_b64_e32 v[0:1], 0x8000000000000000
	s_mov_b32 s0, exec_lo
	s_wait_storecnt 0x0
	s_wait_loadcnt_dscnt 0x0
	s_barrier_signal -1
	s_barrier_wait -1
.LBB3_9:                                ; =>This Inner Loop Header: Depth=1
	s_ctz_i32_b32 s1, s0
	s_delay_alu instid0(SALU_CYCLE_1) | instskip(SKIP_2) | instid1(SALU_CYCLE_1)
	v_readlane_b32 s5, v7, s1
	v_readlane_b32 s4, v6, s1
	s_lshl_b32 s1, 1, s1
	s_and_not1_b32 s0, s0, s1
	v_add_f64_e32 v[0:1], s[4:5], v[0:1]
	s_cmp_lg_u32 s0, 0
	s_cbranch_scc1 .LBB3_9
; %bb.10:
	v_mbcnt_lo_u32_b32 v6, exec_lo, 0
	s_delay_alu instid0(VALU_DEP_1) | instskip(SKIP_1) | instid1(SALU_CYCLE_1)
	v_cmp_eq_u32_e64 s0, 0, v6
	s_and_saveexec_b32 s1, s0
	s_xor_b32 s0, exec_lo, s1
; %bb.11:
	v_mov_b32_e32 v6, 0
	ds_add_f64 v6, v[0:1]
; %bb.12:
	s_or_b32 exec_lo, exec_lo, s0
	v_mov_b64_e32 v[0:1], 0x8000000000000000
	s_mov_b32 s0, exec_lo
.LBB3_13:                               ; =>This Inner Loop Header: Depth=1
	s_delay_alu instid0(SALU_CYCLE_1) | instskip(NEXT) | instid1(SALU_CYCLE_1)
	s_ctz_i32_b32 s1, s0
	v_readlane_b32 s5, v5, s1
	v_readlane_b32 s4, v4, s1
	s_lshl_b32 s1, 1, s1
	s_delay_alu instid0(SALU_CYCLE_1)
	s_and_not1_b32 s0, s0, s1
	v_add_f64_e32 v[0:1], s[4:5], v[0:1]
	s_cmp_lg_u32 s0, 0
	s_cbranch_scc1 .LBB3_13
; %bb.14:
	v_mbcnt_lo_u32_b32 v4, exec_lo, 0
	s_delay_alu instid0(VALU_DEP_1) | instskip(SKIP_1) | instid1(SALU_CYCLE_1)
	v_cmp_eq_u32_e64 s0, 0, v4
	s_and_saveexec_b32 s1, s0
	s_xor_b32 s0, exec_lo, s1
; %bb.15:
	v_mov_b32_e32 v4, 0
	ds_add_f64 v4, v[0:1] offset:8
; %bb.16:
	s_or_b32 exec_lo, exec_lo, s0
	v_mov_b64_e32 v[0:1], 0x8000000000000000
	s_mov_b32 s0, exec_lo
.LBB3_17:                               ; =>This Inner Loop Header: Depth=1
	s_delay_alu instid0(SALU_CYCLE_1) | instskip(NEXT) | instid1(SALU_CYCLE_1)
	s_ctz_i32_b32 s1, s0
	v_readlane_b32 s5, v3, s1
	v_readlane_b32 s4, v2, s1
	s_lshl_b32 s1, 1, s1
	s_delay_alu instid0(SALU_CYCLE_1)
	s_and_not1_b32 s0, s0, s1
	v_add_f64_e32 v[0:1], s[4:5], v[0:1]
	s_cmp_lg_u32 s0, 0
	s_cbranch_scc1 .LBB3_17
; %bb.18:
	v_mbcnt_lo_u32_b32 v2, exec_lo, 0
	s_delay_alu instid0(VALU_DEP_1) | instskip(SKIP_1) | instid1(SALU_CYCLE_1)
	v_cmp_eq_u32_e64 s0, 0, v2
	s_and_saveexec_b32 s1, s0
	s_xor_b32 s0, exec_lo, s1
; %bb.19:
	v_mov_b32_e32 v2, 0
	ds_add_f64 v2, v[0:1] offset:16
; %bb.20:
	s_or_b32 exec_lo, exec_lo, s0
	s_wait_dscnt 0x0
	s_barrier_signal -1
	s_barrier_wait -1
	s_and_saveexec_b32 s0, vcc_lo
	s_cbranch_execz .LBB3_4
; %bb.21:
	v_mov_b32_e32 v6, 0
	ds_load_b128 v[0:3], v6
	ds_load_b64 v[4:5], v6 offset:16
	s_wait_dscnt 0x1
	global_store_b128 v6, v[0:3], s[2:3]
	s_wait_dscnt 0x0
	global_store_b64 v6, v[4:5], s[2:3] offset:16
	s_endpgm
	.section	.rodata,"a",@progbits
	.p2align	6, 0x0
	.amdhsa_kernel _Z25compute_final_beta_kernelILi128EEvPKiPd
		.amdhsa_group_segment_fixed_size 24
		.amdhsa_private_segment_fixed_size 0
		.amdhsa_kernarg_size 16
		.amdhsa_user_sgpr_count 2
		.amdhsa_user_sgpr_dispatch_ptr 0
		.amdhsa_user_sgpr_queue_ptr 0
		.amdhsa_user_sgpr_kernarg_segment_ptr 1
		.amdhsa_user_sgpr_dispatch_id 0
		.amdhsa_user_sgpr_kernarg_preload_length 0
		.amdhsa_user_sgpr_kernarg_preload_offset 0
		.amdhsa_user_sgpr_private_segment_size 0
		.amdhsa_wavefront_size32 1
		.amdhsa_uses_dynamic_stack 0
		.amdhsa_enable_private_segment 0
		.amdhsa_system_sgpr_workgroup_id_x 1
		.amdhsa_system_sgpr_workgroup_id_y 0
		.amdhsa_system_sgpr_workgroup_id_z 0
		.amdhsa_system_sgpr_workgroup_info 0
		.amdhsa_system_vgpr_workitem_id 0
		.amdhsa_next_free_vgpr 12
		.amdhsa_next_free_sgpr 6
		.amdhsa_named_barrier_count 0
		.amdhsa_reserve_vcc 1
		.amdhsa_float_round_mode_32 0
		.amdhsa_float_round_mode_16_64 0
		.amdhsa_float_denorm_mode_32 3
		.amdhsa_float_denorm_mode_16_64 3
		.amdhsa_fp16_overflow 0
		.amdhsa_memory_ordered 1
		.amdhsa_forward_progress 1
		.amdhsa_inst_pref_size 5
		.amdhsa_round_robin_scheduling 0
		.amdhsa_exception_fp_ieee_invalid_op 0
		.amdhsa_exception_fp_denorm_src 0
		.amdhsa_exception_fp_ieee_div_zero 0
		.amdhsa_exception_fp_ieee_overflow 0
		.amdhsa_exception_fp_ieee_underflow 0
		.amdhsa_exception_fp_ieee_inexact 0
		.amdhsa_exception_int_div_zero 0
	.end_amdhsa_kernel
	.section	.text._Z25compute_final_beta_kernelILi128EEvPKiPd,"axG",@progbits,_Z25compute_final_beta_kernelILi128EEvPKiPd,comdat
.Lfunc_end3:
	.size	_Z25compute_final_beta_kernelILi128EEvPKiPd, .Lfunc_end3-_Z25compute_final_beta_kernelILi128EEvPKiPd
                                        ; -- End function
	.set _Z25compute_final_beta_kernelILi128EEvPKiPd.num_vgpr, 12
	.set _Z25compute_final_beta_kernelILi128EEvPKiPd.num_agpr, 0
	.set _Z25compute_final_beta_kernelILi128EEvPKiPd.numbered_sgpr, 6
	.set _Z25compute_final_beta_kernelILi128EEvPKiPd.num_named_barrier, 0
	.set _Z25compute_final_beta_kernelILi128EEvPKiPd.private_seg_size, 0
	.set _Z25compute_final_beta_kernelILi128EEvPKiPd.uses_vcc, 1
	.set _Z25compute_final_beta_kernelILi128EEvPKiPd.uses_flat_scratch, 0
	.set _Z25compute_final_beta_kernelILi128EEvPKiPd.has_dyn_sized_stack, 0
	.set _Z25compute_final_beta_kernelILi128EEvPKiPd.has_recursion, 0
	.set _Z25compute_final_beta_kernelILi128EEvPKiPd.has_indirect_call, 0
	.section	.AMDGPU.csdata,"",@progbits
; Kernel info:
; codeLenInByte = 588
; TotalNumSgprs: 8
; NumVgprs: 12
; ScratchSize: 0
; MemoryBound: 0
; FloatMode: 240
; IeeeMode: 1
; LDSByteSize: 24 bytes/workgroup (compile time only)
; SGPRBlocks: 0
; VGPRBlocks: 0
; NumSGPRsForWavesPerEU: 8
; NumVGPRsForWavesPerEU: 12
; NamedBarCnt: 0
; Occupancy: 16
; WaveLimiterHint : 1
; COMPUTE_PGM_RSRC2:SCRATCH_EN: 0
; COMPUTE_PGM_RSRC2:USER_SGPR: 2
; COMPUTE_PGM_RSRC2:TRAP_HANDLER: 0
; COMPUTE_PGM_RSRC2:TGID_X_EN: 1
; COMPUTE_PGM_RSRC2:TGID_Y_EN: 0
; COMPUTE_PGM_RSRC2:TGID_Z_EN: 0
; COMPUTE_PGM_RSRC2:TIDIG_COMP_CNT: 0
	.section	.text._Z22update_cashflow_kernelILi128E9PayoffPutEviT0_dPKdS3_PKiPd,"axG",@progbits,_Z22update_cashflow_kernelILi128E9PayoffPutEviT0_dPKdS3_PKiPd,comdat
	.protected	_Z22update_cashflow_kernelILi128E9PayoffPutEviT0_dPKdS3_PKiPd ; -- Begin function _Z22update_cashflow_kernelILi128E9PayoffPutEviT0_dPKdS3_PKiPd
	.globl	_Z22update_cashflow_kernelILi128E9PayoffPutEviT0_dPKdS3_PKiPd
	.p2align	8
	.type	_Z22update_cashflow_kernelILi128E9PayoffPutEviT0_dPKdS3_PKiPd,@function
_Z22update_cashflow_kernelILi128E9PayoffPutEviT0_dPKdS3_PKiPd: ; @_Z22update_cashflow_kernelILi128E9PayoffPutEviT0_dPKdS3_PKiPd
; %bb.0:
	s_load_b32 s20, s[0:1], 0x0
	s_bfe_u32 s2, ttmp6, 0x4000c
	s_and_b32 s3, ttmp6, 15
	s_add_co_i32 s2, s2, 1
	s_getreg_b32 s4, hwreg(HW_REG_IB_STS2, 6, 4)
	s_mul_i32 s2, ttmp9, s2
	s_mov_b32 s21, 0
	s_add_co_i32 s3, s3, s2
	s_cmp_eq_u32 s4, 0
	s_cselect_b32 s2, ttmp9, s3
	s_delay_alu instid0(SALU_CYCLE_1) | instskip(SKIP_2) | instid1(VALU_DEP_1)
	v_lshl_or_b32 v0, s2, 7, v0
	s_mov_b32 s2, exec_lo
	s_wait_kmcnt 0x0
	v_cmpx_gt_i32_e64 s20, v0
	s_cbranch_execz .LBB4_9
; %bb.1:
	s_clause 0x2
	s_load_b128 s[12:15], s[0:1], 0x28
	s_load_b256 s[4:11], s[0:1], 0x8
	s_load_b32 s18, s[0:1], 0x38
	v_ashrrev_i32_e32 v1, 31, v0
	s_wait_kmcnt 0x0
	s_load_b32 s19, s[12:13], 0x0
	s_clause 0x1
	s_load_b128 s[0:3], s[8:9], 0x0
	s_load_b64 s[16:17], s[8:9], 0x10
	s_wait_xcnt 0x0
	s_lshl_b32 s12, s18, 7
	v_lshlrev_b64_e32 v[2:3], 3, v[0:1]
	s_mov_b64 s[8:9], 0x3e45798ee2308c3a
	s_wait_kmcnt 0x0
	s_cmp_eq_u32 s19, 0
	s_cselect_b32 s22, -1, 0
	s_ashr_i32 s13, s12, 31
	s_delay_alu instid0(SALU_CYCLE_1)
	s_lshl_b64 s[18:19], s[12:13], 3
	s_branch .LBB4_4
.LBB4_2:                                ;   in Loop: Header=BB4_4 Depth=1
	s_or_b32 exec_lo, exec_lo, s23
	s_delay_alu instid0(VALU_DEP_1)
	v_mov_b64_e32 v[6:7], v[8:9]
.LBB4_3:                                ;   in Loop: Header=BB4_4 Depth=1
	v_add_nc_u32_e32 v0, s12, v0
	v_add_nc_u64_e32 v[2:3], s[18:19], v[2:3]
	global_store_b64 v[4:5], v[6:7], off
	v_cmp_le_i32_e32 vcc_lo, s20, v0
	s_or_b32 s21, vcc_lo, s21
	s_wait_xcnt 0x0
	s_and_not1_b32 exec_lo, exec_lo, s21
	s_cbranch_execz .LBB4_9
.LBB4_4:                                ; =>This Inner Loop Header: Depth=1
	v_add_nc_u64_e32 v[4:5], s[14:15], v[2:3]
	s_and_not1_b32 vcc_lo, exec_lo, s22
	global_load_b64 v[6:7], v[4:5], off
	s_wait_loadcnt 0x0
	v_mul_f64_e32 v[6:7], s[6:7], v[6:7]
	s_cbranch_vccnz .LBB4_3
; %bb.5:                                ;   in Loop: Header=BB4_4 Depth=1
	v_add_nc_u64_e32 v[8:9], s[10:11], v[2:3]
	s_mov_b32 s23, exec_lo
	global_load_b64 v[10:11], v[8:9], off
	s_wait_loadcnt 0x0
	s_wait_xcnt 0x0
	v_add_f64_e64 v[8:9], s[4:5], -v[10:11]
	s_delay_alu instid0(VALU_DEP_1) | instskip(NEXT) | instid1(VALU_DEP_1)
	v_max_num_f64_e32 v[8:9], 0, v[8:9]
	v_cmp_ge_f64_e64 s13, s[8:9], v[8:9]
	v_cmpx_nge_f64_e32 s[8:9], v[8:9]
	s_cbranch_execz .LBB4_7
; %bb.6:                                ;   in Loop: Header=BB4_4 Depth=1
	v_fma_f64 v[12:13], s[2:3], v[10:11], s[0:1]
	v_mul_f64_e32 v[10:11], v[10:11], v[10:11]
	s_and_not1_b32 s13, s13, exec_lo
	s_delay_alu instid0(VALU_DEP_1) | instskip(NEXT) | instid1(VALU_DEP_1)
	v_fmac_f64_e32 v[12:13], s[16:17], v[10:11]
	v_mul_f64_e32 v[10:11], s[6:7], v[12:13]
	s_delay_alu instid0(VALU_DEP_1) | instskip(SKIP_1) | instid1(SALU_CYCLE_1)
	v_cmp_le_f64_e32 vcc_lo, v[8:9], v[10:11]
	s_and_b32 s24, vcc_lo, exec_lo
	s_or_b32 s13, s13, s24
.LBB4_7:                                ;   in Loop: Header=BB4_4 Depth=1
	s_or_b32 exec_lo, exec_lo, s23
	s_and_saveexec_b32 s23, s13
	s_cbranch_execz .LBB4_2
; %bb.8:                                ;   in Loop: Header=BB4_4 Depth=1
	v_mov_b64_e32 v[8:9], v[6:7]
	s_branch .LBB4_2
.LBB4_9:
	s_endpgm
	.section	.rodata,"a",@progbits
	.p2align	6, 0x0
	.amdhsa_kernel _Z22update_cashflow_kernelILi128E9PayoffPutEviT0_dPKdS3_PKiPd
		.amdhsa_group_segment_fixed_size 0
		.amdhsa_private_segment_fixed_size 0
		.amdhsa_kernarg_size 312
		.amdhsa_user_sgpr_count 2
		.amdhsa_user_sgpr_dispatch_ptr 0
		.amdhsa_user_sgpr_queue_ptr 0
		.amdhsa_user_sgpr_kernarg_segment_ptr 1
		.amdhsa_user_sgpr_dispatch_id 0
		.amdhsa_user_sgpr_kernarg_preload_length 0
		.amdhsa_user_sgpr_kernarg_preload_offset 0
		.amdhsa_user_sgpr_private_segment_size 0
		.amdhsa_wavefront_size32 1
		.amdhsa_uses_dynamic_stack 0
		.amdhsa_enable_private_segment 0
		.amdhsa_system_sgpr_workgroup_id_x 1
		.amdhsa_system_sgpr_workgroup_id_y 0
		.amdhsa_system_sgpr_workgroup_id_z 0
		.amdhsa_system_sgpr_workgroup_info 0
		.amdhsa_system_vgpr_workitem_id 0
		.amdhsa_next_free_vgpr 14
		.amdhsa_next_free_sgpr 25
		.amdhsa_named_barrier_count 0
		.amdhsa_reserve_vcc 1
		.amdhsa_float_round_mode_32 0
		.amdhsa_float_round_mode_16_64 0
		.amdhsa_float_denorm_mode_32 3
		.amdhsa_float_denorm_mode_16_64 3
		.amdhsa_fp16_overflow 0
		.amdhsa_memory_ordered 1
		.amdhsa_forward_progress 1
		.amdhsa_inst_pref_size 4
		.amdhsa_round_robin_scheduling 0
		.amdhsa_exception_fp_ieee_invalid_op 0
		.amdhsa_exception_fp_denorm_src 0
		.amdhsa_exception_fp_ieee_div_zero 0
		.amdhsa_exception_fp_ieee_overflow 0
		.amdhsa_exception_fp_ieee_underflow 0
		.amdhsa_exception_fp_ieee_inexact 0
		.amdhsa_exception_int_div_zero 0
	.end_amdhsa_kernel
	.section	.text._Z22update_cashflow_kernelILi128E9PayoffPutEviT0_dPKdS3_PKiPd,"axG",@progbits,_Z22update_cashflow_kernelILi128E9PayoffPutEviT0_dPKdS3_PKiPd,comdat
.Lfunc_end4:
	.size	_Z22update_cashflow_kernelILi128E9PayoffPutEviT0_dPKdS3_PKiPd, .Lfunc_end4-_Z22update_cashflow_kernelILi128E9PayoffPutEviT0_dPKdS3_PKiPd
                                        ; -- End function
	.set _Z22update_cashflow_kernelILi128E9PayoffPutEviT0_dPKdS3_PKiPd.num_vgpr, 14
	.set _Z22update_cashflow_kernelILi128E9PayoffPutEviT0_dPKdS3_PKiPd.num_agpr, 0
	.set _Z22update_cashflow_kernelILi128E9PayoffPutEviT0_dPKdS3_PKiPd.numbered_sgpr, 25
	.set _Z22update_cashflow_kernelILi128E9PayoffPutEviT0_dPKdS3_PKiPd.num_named_barrier, 0
	.set _Z22update_cashflow_kernelILi128E9PayoffPutEviT0_dPKdS3_PKiPd.private_seg_size, 0
	.set _Z22update_cashflow_kernelILi128E9PayoffPutEviT0_dPKdS3_PKiPd.uses_vcc, 1
	.set _Z22update_cashflow_kernelILi128E9PayoffPutEviT0_dPKdS3_PKiPd.uses_flat_scratch, 0
	.set _Z22update_cashflow_kernelILi128E9PayoffPutEviT0_dPKdS3_PKiPd.has_dyn_sized_stack, 0
	.set _Z22update_cashflow_kernelILi128E9PayoffPutEviT0_dPKdS3_PKiPd.has_recursion, 0
	.set _Z22update_cashflow_kernelILi128E9PayoffPutEviT0_dPKdS3_PKiPd.has_indirect_call, 0
	.section	.AMDGPU.csdata,"",@progbits
; Kernel info:
; codeLenInByte = 408
; TotalNumSgprs: 27
; NumVgprs: 14
; ScratchSize: 0
; MemoryBound: 0
; FloatMode: 240
; IeeeMode: 1
; LDSByteSize: 0 bytes/workgroup (compile time only)
; SGPRBlocks: 0
; VGPRBlocks: 0
; NumSGPRsForWavesPerEU: 27
; NumVGPRsForWavesPerEU: 14
; NamedBarCnt: 0
; Occupancy: 16
; WaveLimiterHint : 0
; COMPUTE_PGM_RSRC2:SCRATCH_EN: 0
; COMPUTE_PGM_RSRC2:USER_SGPR: 2
; COMPUTE_PGM_RSRC2:TRAP_HANDLER: 0
; COMPUTE_PGM_RSRC2:TGID_X_EN: 1
; COMPUTE_PGM_RSRC2:TGID_Y_EN: 0
; COMPUTE_PGM_RSRC2:TGID_Z_EN: 0
; COMPUTE_PGM_RSRC2:TIDIG_COMP_CNT: 0
	.section	.text._Z27compute_partial_sums_kernelILi128EEviPKdPd,"axG",@progbits,_Z27compute_partial_sums_kernelILi128EEviPKdPd,comdat
	.protected	_Z27compute_partial_sums_kernelILi128EEviPKdPd ; -- Begin function _Z27compute_partial_sums_kernelILi128EEviPKdPd
	.globl	_Z27compute_partial_sums_kernelILi128EEviPKdPd
	.p2align	8
	.type	_Z27compute_partial_sums_kernelILi128EEviPKdPd,@function
_Z27compute_partial_sums_kernelILi128EEviPKdPd: ; @_Z27compute_partial_sums_kernelILi128EEviPKdPd
; %bb.0:
	s_load_b32 s2, s[0:1], 0x0
	s_bfe_u32 s3, ttmp6, 0x4000c
	s_and_b32 s4, ttmp6, 15
	s_add_co_i32 s3, s3, 1
	s_getreg_b32 s5, hwreg(HW_REG_IB_STS2, 6, 4)
	s_mul_i32 s3, ttmp9, s3
	v_mov_b64_e32 v[2:3], 0
	s_add_co_i32 s4, s4, s3
	s_cmp_eq_u32 s5, 0
	s_cselect_b32 s4, ttmp9, s4
	s_delay_alu instid0(SALU_CYCLE_1) | instskip(SKIP_1) | instid1(VALU_DEP_1)
	v_lshl_or_b32 v1, s4, 7, v0
	s_wait_kmcnt 0x0
	v_cmp_gt_i32_e32 vcc_lo, s2, v1
	s_and_saveexec_b32 s2, vcc_lo
	s_cbranch_execz .LBB5_2
; %bb.1:
	s_load_b64 s[6:7], s[0:1], 0x8
	s_wait_kmcnt 0x0
	global_load_b64 v[2:3], v1, s[6:7] scale_offset
.LBB5_2:
	s_wait_xcnt 0x0
	s_or_b32 exec_lo, exec_lo, s2
	s_load_b64 s[2:3], s[0:1], 0x10
	v_cmp_eq_u32_e32 vcc_lo, 0, v0
	s_wait_xcnt 0x0
	s_and_saveexec_b32 s0, vcc_lo
; %bb.3:
	v_mov_b64_e32 v[0:1], 0
	v_mov_b32_e32 v4, 0
	ds_store_b64 v4, v[0:1]
; %bb.4:
	s_or_b32 exec_lo, exec_lo, s0
	v_mov_b64_e32 v[0:1], 0x8000000000000000
	s_mov_b32 s0, exec_lo
	s_wait_loadcnt_dscnt 0x0
	s_barrier_signal -1
	s_barrier_wait -1
.LBB5_5:                                ; =>This Inner Loop Header: Depth=1
	s_ctz_i32_b32 s1, s0
	s_delay_alu instid0(SALU_CYCLE_1) | instskip(SKIP_2) | instid1(SALU_CYCLE_1)
	v_readlane_b32 s7, v3, s1
	v_readlane_b32 s6, v2, s1
	s_lshl_b32 s1, 1, s1
	s_and_not1_b32 s0, s0, s1
	v_add_f64_e32 v[0:1], s[6:7], v[0:1]
	s_cmp_lg_u32 s0, 0
	s_cbranch_scc1 .LBB5_5
; %bb.6:
	v_mbcnt_lo_u32_b32 v2, exec_lo, 0
	s_delay_alu instid0(VALU_DEP_1) | instskip(SKIP_1) | instid1(SALU_CYCLE_1)
	v_cmp_eq_u32_e64 s0, 0, v2
	s_and_saveexec_b32 s1, s0
	s_xor_b32 s0, exec_lo, s1
; %bb.7:
	v_mov_b32_e32 v2, 0
	ds_add_f64 v2, v[0:1]
; %bb.8:
	s_or_b32 exec_lo, exec_lo, s0
	s_wait_dscnt 0x0
	s_barrier_signal -1
	s_barrier_wait -1
	s_and_saveexec_b32 s0, vcc_lo
	s_cbranch_execz .LBB5_10
; %bb.9:
	v_dual_mov_b32 v0, 0 :: v_dual_mov_b32 v2, s4
	ds_load_b64 v[0:1], v0
	s_wait_dscnt 0x0
	s_wait_kmcnt 0x0
	global_store_b64 v2, v[0:1], s[2:3] scale_offset
.LBB5_10:
	s_endpgm
	.section	.rodata,"a",@progbits
	.p2align	6, 0x0
	.amdhsa_kernel _Z27compute_partial_sums_kernelILi128EEviPKdPd
		.amdhsa_group_segment_fixed_size 8
		.amdhsa_private_segment_fixed_size 0
		.amdhsa_kernarg_size 24
		.amdhsa_user_sgpr_count 2
		.amdhsa_user_sgpr_dispatch_ptr 0
		.amdhsa_user_sgpr_queue_ptr 0
		.amdhsa_user_sgpr_kernarg_segment_ptr 1
		.amdhsa_user_sgpr_dispatch_id 0
		.amdhsa_user_sgpr_kernarg_preload_length 0
		.amdhsa_user_sgpr_kernarg_preload_offset 0
		.amdhsa_user_sgpr_private_segment_size 0
		.amdhsa_wavefront_size32 1
		.amdhsa_uses_dynamic_stack 0
		.amdhsa_enable_private_segment 0
		.amdhsa_system_sgpr_workgroup_id_x 1
		.amdhsa_system_sgpr_workgroup_id_y 0
		.amdhsa_system_sgpr_workgroup_id_z 0
		.amdhsa_system_sgpr_workgroup_info 0
		.amdhsa_system_vgpr_workitem_id 0
		.amdhsa_next_free_vgpr 5
		.amdhsa_next_free_sgpr 8
		.amdhsa_named_barrier_count 0
		.amdhsa_reserve_vcc 1
		.amdhsa_float_round_mode_32 0
		.amdhsa_float_round_mode_16_64 0
		.amdhsa_float_denorm_mode_32 3
		.amdhsa_float_denorm_mode_16_64 3
		.amdhsa_fp16_overflow 0
		.amdhsa_memory_ordered 1
		.amdhsa_forward_progress 1
		.amdhsa_inst_pref_size 3
		.amdhsa_round_robin_scheduling 0
		.amdhsa_exception_fp_ieee_invalid_op 0
		.amdhsa_exception_fp_denorm_src 0
		.amdhsa_exception_fp_ieee_div_zero 0
		.amdhsa_exception_fp_ieee_overflow 0
		.amdhsa_exception_fp_ieee_underflow 0
		.amdhsa_exception_fp_ieee_inexact 0
		.amdhsa_exception_int_div_zero 0
	.end_amdhsa_kernel
	.section	.text._Z27compute_partial_sums_kernelILi128EEviPKdPd,"axG",@progbits,_Z27compute_partial_sums_kernelILi128EEviPKdPd,comdat
.Lfunc_end5:
	.size	_Z27compute_partial_sums_kernelILi128EEviPKdPd, .Lfunc_end5-_Z27compute_partial_sums_kernelILi128EEviPKdPd
                                        ; -- End function
	.set _Z27compute_partial_sums_kernelILi128EEviPKdPd.num_vgpr, 5
	.set _Z27compute_partial_sums_kernelILi128EEviPKdPd.num_agpr, 0
	.set _Z27compute_partial_sums_kernelILi128EEviPKdPd.numbered_sgpr, 8
	.set _Z27compute_partial_sums_kernelILi128EEviPKdPd.num_named_barrier, 0
	.set _Z27compute_partial_sums_kernelILi128EEviPKdPd.private_seg_size, 0
	.set _Z27compute_partial_sums_kernelILi128EEviPKdPd.uses_vcc, 1
	.set _Z27compute_partial_sums_kernelILi128EEviPKdPd.uses_flat_scratch, 0
	.set _Z27compute_partial_sums_kernelILi128EEviPKdPd.has_dyn_sized_stack, 0
	.set _Z27compute_partial_sums_kernelILi128EEviPKdPd.has_recursion, 0
	.set _Z27compute_partial_sums_kernelILi128EEviPKdPd.has_indirect_call, 0
	.section	.AMDGPU.csdata,"",@progbits
; Kernel info:
; codeLenInByte = 328
; TotalNumSgprs: 10
; NumVgprs: 5
; ScratchSize: 0
; MemoryBound: 0
; FloatMode: 240
; IeeeMode: 1
; LDSByteSize: 8 bytes/workgroup (compile time only)
; SGPRBlocks: 0
; VGPRBlocks: 0
; NumSGPRsForWavesPerEU: 10
; NumVGPRsForWavesPerEU: 5
; NamedBarCnt: 0
; Occupancy: 16
; WaveLimiterHint : 0
; COMPUTE_PGM_RSRC2:SCRATCH_EN: 0
; COMPUTE_PGM_RSRC2:USER_SGPR: 2
; COMPUTE_PGM_RSRC2:TRAP_HANDLER: 0
; COMPUTE_PGM_RSRC2:TGID_X_EN: 1
; COMPUTE_PGM_RSRC2:TGID_Y_EN: 0
; COMPUTE_PGM_RSRC2:TGID_Z_EN: 0
; COMPUTE_PGM_RSRC2:TIDIG_COMP_CNT: 0
	.section	.text._Z24compute_final_sum_kernelILi128EEviidPd,"axG",@progbits,_Z24compute_final_sum_kernelILi128EEviidPd,comdat
	.protected	_Z24compute_final_sum_kernelILi128EEviidPd ; -- Begin function _Z24compute_final_sum_kernelILi128EEviidPd
	.globl	_Z24compute_final_sum_kernelILi128EEviidPd
	.p2align	8
	.type	_Z24compute_final_sum_kernelILi128EEviidPd,@function
_Z24compute_final_sum_kernelILi128EEviidPd: ; @_Z24compute_final_sum_kernelILi128EEviidPd
; %bb.0:
	s_clause 0x1
	s_load_b64 s[6:7], s[0:1], 0x0
	s_load_b64 s[4:5], s[0:1], 0x10
	v_mov_b64_e32 v[2:3], 0
	s_mov_b32 s2, exec_lo
	s_wait_kmcnt 0x0
	v_cmpx_gt_i32_e64 s7, v0
	s_cbranch_execz .LBB6_4
; %bb.1:
	v_dual_mov_b32 v3, 0 :: v_dual_lshlrev_b32 v2, 3, v0
	v_mov_b32_e32 v1, v0
	s_mov_b32 s3, 0
	s_delay_alu instid0(VALU_DEP_2)
	v_add_nc_u64_e32 v[4:5], s[4:5], v[2:3]
	v_mov_b64_e32 v[2:3], 0
.LBB6_2:                                ; =>This Inner Loop Header: Depth=1
	global_load_b64 v[6:7], v[4:5], off
	v_add_nc_u32_e32 v1, 0x80, v1
	s_wait_xcnt 0x0
	v_add_nc_u64_e32 v[4:5], 0x400, v[4:5]
	s_delay_alu instid0(VALU_DEP_2)
	v_cmp_le_i32_e32 vcc_lo, s7, v1
	s_or_b32 s3, vcc_lo, s3
	s_wait_loadcnt 0x0
	v_add_f64_e32 v[2:3], v[2:3], v[6:7]
	s_and_not1_b32 exec_lo, exec_lo, s3
	s_cbranch_execnz .LBB6_2
; %bb.3:
	s_or_b32 exec_lo, exec_lo, s3
.LBB6_4:
	s_delay_alu instid0(SALU_CYCLE_1)
	s_or_b32 exec_lo, exec_lo, s2
	v_cmp_eq_u32_e32 vcc_lo, 0, v0
	s_and_saveexec_b32 s2, vcc_lo
; %bb.5:
	v_mov_b64_e32 v[0:1], 0
	v_mov_b32_e32 v4, 0
	ds_store_b64 v4, v[0:1]
; %bb.6:
	s_or_b32 exec_lo, exec_lo, s2
	v_mov_b64_e32 v[0:1], 0x8000000000000000
	s_mov_b32 s2, exec_lo
	s_wait_dscnt 0x0
	s_barrier_signal -1
	s_barrier_wait -1
.LBB6_7:                                ; =>This Inner Loop Header: Depth=1
	s_ctz_i32_b32 s3, s2
	s_delay_alu instid0(SALU_CYCLE_1) | instskip(SKIP_2) | instid1(SALU_CYCLE_1)
	v_readlane_b32 s9, v3, s3
	v_readlane_b32 s8, v2, s3
	s_lshl_b32 s3, 1, s3
	s_and_not1_b32 s2, s2, s3
	v_add_f64_e32 v[0:1], s[8:9], v[0:1]
	s_cmp_lg_u32 s2, 0
	s_cbranch_scc1 .LBB6_7
; %bb.8:
	v_mbcnt_lo_u32_b32 v2, exec_lo, 0
	s_delay_alu instid0(VALU_DEP_1) | instskip(SKIP_1) | instid1(SALU_CYCLE_1)
	v_cmp_eq_u32_e64 s2, 0, v2
	s_and_saveexec_b32 s3, s2
	s_xor_b32 s2, exec_lo, s3
; %bb.9:
	v_mov_b32_e32 v2, 0
	ds_add_f64 v2, v[0:1]
; %bb.10:
	s_or_b32 exec_lo, exec_lo, s2
	s_wait_dscnt 0x0
	s_barrier_signal -1
	s_barrier_wait -1
	s_and_saveexec_b32 s2, vcc_lo
	s_cbranch_execz .LBB6_12
; %bb.11:
	s_load_b64 s[0:1], s[0:1], 0x8
	v_mov_b32_e32 v12, 0
	v_cvt_f64_i32_e32 v[2:3], s6
	ds_load_b64 v[0:1], v12
	s_wait_dscnt 0x0
	s_wait_kmcnt 0x0
	v_mul_f64_e32 v[0:1], s[0:1], v[0:1]
	s_delay_alu instid0(VALU_DEP_1) | instskip(NEXT) | instid1(VALU_DEP_1)
	v_div_scale_f64 v[4:5], null, v[2:3], v[2:3], v[0:1]
	v_rcp_f64_e32 v[6:7], v[4:5]
	v_nop
	s_delay_alu instid0(TRANS32_DEP_1) | instskip(NEXT) | instid1(VALU_DEP_1)
	v_fma_f64 v[8:9], -v[4:5], v[6:7], 1.0
	v_fmac_f64_e32 v[6:7], v[6:7], v[8:9]
	s_delay_alu instid0(VALU_DEP_1) | instskip(NEXT) | instid1(VALU_DEP_1)
	v_fma_f64 v[8:9], -v[4:5], v[6:7], 1.0
	v_fmac_f64_e32 v[6:7], v[6:7], v[8:9]
	v_div_scale_f64 v[8:9], vcc_lo, v[0:1], v[2:3], v[0:1]
	s_delay_alu instid0(VALU_DEP_1) | instskip(NEXT) | instid1(VALU_DEP_1)
	v_mul_f64_e32 v[10:11], v[8:9], v[6:7]
	v_fma_f64 v[4:5], -v[4:5], v[10:11], v[8:9]
	s_delay_alu instid0(VALU_DEP_1) | instskip(NEXT) | instid1(VALU_DEP_1)
	v_div_fmas_f64 v[4:5], v[4:5], v[6:7], v[10:11]
	v_div_fixup_f64 v[0:1], v[4:5], v[2:3], v[0:1]
	global_store_b64 v12, v[0:1], s[4:5]
.LBB6_12:
	s_endpgm
	.section	.rodata,"a",@progbits
	.p2align	6, 0x0
	.amdhsa_kernel _Z24compute_final_sum_kernelILi128EEviidPd
		.amdhsa_group_segment_fixed_size 8
		.amdhsa_private_segment_fixed_size 0
		.amdhsa_kernarg_size 24
		.amdhsa_user_sgpr_count 2
		.amdhsa_user_sgpr_dispatch_ptr 0
		.amdhsa_user_sgpr_queue_ptr 0
		.amdhsa_user_sgpr_kernarg_segment_ptr 1
		.amdhsa_user_sgpr_dispatch_id 0
		.amdhsa_user_sgpr_kernarg_preload_length 0
		.amdhsa_user_sgpr_kernarg_preload_offset 0
		.amdhsa_user_sgpr_private_segment_size 0
		.amdhsa_wavefront_size32 1
		.amdhsa_uses_dynamic_stack 0
		.amdhsa_enable_private_segment 0
		.amdhsa_system_sgpr_workgroup_id_x 1
		.amdhsa_system_sgpr_workgroup_id_y 0
		.amdhsa_system_sgpr_workgroup_id_z 0
		.amdhsa_system_sgpr_workgroup_info 0
		.amdhsa_system_vgpr_workitem_id 0
		.amdhsa_next_free_vgpr 13
		.amdhsa_next_free_sgpr 10
		.amdhsa_named_barrier_count 0
		.amdhsa_reserve_vcc 1
		.amdhsa_float_round_mode_32 0
		.amdhsa_float_round_mode_16_64 0
		.amdhsa_float_denorm_mode_32 3
		.amdhsa_float_denorm_mode_16_64 3
		.amdhsa_fp16_overflow 0
		.amdhsa_memory_ordered 1
		.amdhsa_forward_progress 1
		.amdhsa_inst_pref_size 4
		.amdhsa_round_robin_scheduling 0
		.amdhsa_exception_fp_ieee_invalid_op 0
		.amdhsa_exception_fp_denorm_src 0
		.amdhsa_exception_fp_ieee_div_zero 0
		.amdhsa_exception_fp_ieee_overflow 0
		.amdhsa_exception_fp_ieee_underflow 0
		.amdhsa_exception_fp_ieee_inexact 0
		.amdhsa_exception_int_div_zero 0
	.end_amdhsa_kernel
	.section	.text._Z24compute_final_sum_kernelILi128EEviidPd,"axG",@progbits,_Z24compute_final_sum_kernelILi128EEviidPd,comdat
.Lfunc_end6:
	.size	_Z24compute_final_sum_kernelILi128EEviidPd, .Lfunc_end6-_Z24compute_final_sum_kernelILi128EEviidPd
                                        ; -- End function
	.set _Z24compute_final_sum_kernelILi128EEviidPd.num_vgpr, 13
	.set _Z24compute_final_sum_kernelILi128EEviidPd.num_agpr, 0
	.set _Z24compute_final_sum_kernelILi128EEviidPd.numbered_sgpr, 10
	.set _Z24compute_final_sum_kernelILi128EEviidPd.num_named_barrier, 0
	.set _Z24compute_final_sum_kernelILi128EEviidPd.private_seg_size, 0
	.set _Z24compute_final_sum_kernelILi128EEviidPd.uses_vcc, 1
	.set _Z24compute_final_sum_kernelILi128EEviidPd.uses_flat_scratch, 0
	.set _Z24compute_final_sum_kernelILi128EEviidPd.has_dyn_sized_stack, 0
	.set _Z24compute_final_sum_kernelILi128EEviidPd.has_recursion, 0
	.set _Z24compute_final_sum_kernelILi128EEviidPd.has_indirect_call, 0
	.section	.AMDGPU.csdata,"",@progbits
; Kernel info:
; codeLenInByte = 456
; TotalNumSgprs: 12
; NumVgprs: 13
; ScratchSize: 0
; MemoryBound: 0
; FloatMode: 240
; IeeeMode: 1
; LDSByteSize: 8 bytes/workgroup (compile time only)
; SGPRBlocks: 0
; VGPRBlocks: 0
; NumSGPRsForWavesPerEU: 12
; NumVGPRsForWavesPerEU: 13
; NamedBarCnt: 0
; Occupancy: 16
; WaveLimiterHint : 0
; COMPUTE_PGM_RSRC2:SCRATCH_EN: 0
; COMPUTE_PGM_RSRC2:USER_SGPR: 2
; COMPUTE_PGM_RSRC2:TRAP_HANDLER: 0
; COMPUTE_PGM_RSRC2:TGID_X_EN: 1
; COMPUTE_PGM_RSRC2:TGID_Y_EN: 0
; COMPUTE_PGM_RSRC2:TGID_Z_EN: 0
; COMPUTE_PGM_RSRC2:TIDIG_COMP_CNT: 0
	.section	.text._Z21generate_paths_kernelILi256E10PayoffCallEviiT0_ddddPKdPd,"axG",@progbits,_Z21generate_paths_kernelILi256E10PayoffCallEviiT0_ddddPKdPd,comdat
	.protected	_Z21generate_paths_kernelILi256E10PayoffCallEviiT0_ddddPKdPd ; -- Begin function _Z21generate_paths_kernelILi256E10PayoffCallEviiT0_ddddPKdPd
	.globl	_Z21generate_paths_kernelILi256E10PayoffCallEviiT0_ddddPKdPd
	.p2align	8
	.type	_Z21generate_paths_kernelILi256E10PayoffCallEviiT0_ddddPKdPd,@function
_Z21generate_paths_kernelILi256E10PayoffCallEviiT0_ddddPKdPd: ; @_Z21generate_paths_kernelILi256E10PayoffCallEviiT0_ddddPKdPd
; %bb.0:
	s_load_b64 s[2:3], s[0:1], 0x0
	s_bfe_u32 s4, ttmp6, 0x4000c
	s_and_b32 s5, ttmp6, 15
	s_add_co_i32 s4, s4, 1
	s_getreg_b32 s6, hwreg(HW_REG_IB_STS2, 6, 4)
	s_mul_i32 s4, ttmp9, s4
	s_delay_alu instid0(SALU_CYCLE_1) | instskip(SKIP_2) | instid1(SALU_CYCLE_1)
	s_add_co_i32 s5, s5, s4
	s_cmp_eq_u32 s6, 0
	s_cselect_b32 s4, ttmp9, s5
	v_lshl_or_b32 v0, s4, 8, v0
	s_mov_b32 s4, exec_lo
	s_wait_kmcnt 0x0
	s_delay_alu instid0(VALU_DEP_1)
	v_cmpx_gt_i32_e64 s3, v0
	s_cbranch_execz .LBB7_6
; %bb.1:
	s_clause 0x1
	s_load_b256 s[4:11], s[0:1], 0x8
	s_load_b64 s[16:17], s[0:1], 0x38
	s_wait_kmcnt 0x0
	v_cmp_gt_f64_e64 s12, 0x10000000, s[6:7]
	s_and_b32 s12, s12, exec_lo
	s_cselect_b32 s12, 0x100, 0
	s_delay_alu instid0(SALU_CYCLE_1) | instskip(SKIP_4) | instid1(VALU_DEP_1)
	v_ldexp_f64 v[2:3], s[6:7], s12
	s_load_b128 s[12:15], s[0:1], 0x28
	s_wait_xcnt 0x0
	s_cselect_b32 s0, 0xffffff80, 0
	s_cmp_lt_i32 s2, 2
	v_rsq_f64_e32 v[4:5], v[2:3]
	v_cmp_class_f64_e64 vcc_lo, v[2:3], 0x260
	s_delay_alu instid0(TRANS32_DEP_1) | instskip(SKIP_1) | instid1(VALU_DEP_1)
	v_mul_f64_e32 v[6:7], v[2:3], v[4:5]
	v_mul_f64_e32 v[4:5], 0.5, v[4:5]
	v_fma_f64 v[8:9], -v[4:5], v[6:7], 0.5
	s_delay_alu instid0(VALU_DEP_1) | instskip(SKIP_1) | instid1(VALU_DEP_2)
	v_fmac_f64_e32 v[6:7], v[6:7], v[8:9]
	v_fmac_f64_e32 v[4:5], v[4:5], v[8:9]
	v_fma_f64 v[8:9], -v[6:7], v[6:7], v[2:3]
	s_delay_alu instid0(VALU_DEP_1) | instskip(NEXT) | instid1(VALU_DEP_1)
	v_fmac_f64_e32 v[6:7], v[8:9], v[4:5]
	v_fma_f64 v[8:9], -v[6:7], v[6:7], v[2:3]
	s_delay_alu instid0(VALU_DEP_1) | instskip(SKIP_3) | instid1(VALU_DEP_3)
	v_fmac_f64_e32 v[6:7], v[8:9], v[4:5]
	s_wait_kmcnt 0x0
	v_mul_f64_e64 v[4:5], s[12:13], -0.5
	v_dual_mov_b32 v8, s10 :: v_dual_mov_b32 v9, s11
	v_ldexp_f64 v[6:7], v[6:7], s0
	s_delay_alu instid0(VALU_DEP_2) | instskip(NEXT) | instid1(VALU_DEP_2)
	v_fmac_f64_e32 v[8:9], s[12:13], v[4:5]
	v_dual_cndmask_b32 v5, v7, v3 :: v_dual_cndmask_b32 v4, v6, v2
	s_delay_alu instid0(VALU_DEP_2) | instskip(NEXT) | instid1(VALU_DEP_2)
	v_mul_f64_e32 v[2:3], s[6:7], v[8:9]
	v_mul_f64_e32 v[6:7], s[12:13], v[4:5]
	s_cbranch_scc1 .LBB7_4
; %bb.2:
	v_ashrrev_i32_e32 v1, 31, v0
	v_mov_b64_e32 v[10:11], 0x3e928af3fca7ab0c
	v_mov_b64_e32 v[4:5], s[8:9]
	s_ashr_i32 s7, s3, 31
	s_mov_b32 s6, s3
	v_lshlrev_b64_e32 v[8:9], 3, v[0:1]
	s_add_co_i32 s1, s2, -1
	s_lshl_b64 s[6:7], s[6:7], 3
                                        ; implicit-def: $vgpr12_vgpr13
                                        ; implicit-def: $vgpr12_vgpr13
	;; [unrolled: 1-line block ×8, first 2 shown]
.LBB7_3:                                ; =>This Inner Loop Header: Depth=1
	s_wait_xcnt 0x0
	s_delay_alu instid0(VALU_DEP_1)
	v_add_nc_u64_e32 v[12:13], s[14:15], v[8:9]
	v_add_nc_u32_e32 v0, s3, v0
	s_add_co_i32 s1, s1, -1
	global_load_b64 v[12:13], v[12:13], off
	s_wait_loadcnt 0x0
	s_wait_xcnt 0x0
	v_fma_f64 v[12:13], v[6:7], v[12:13], v[2:3]
	s_delay_alu instid0(VALU_DEP_1) | instskip(SKIP_2) | instid1(VALU_DEP_3)
	v_mul_f64_e32 v[14:15], 0x3ff71547652b82fe, v[12:13]
	v_cmp_nlt_f64_e32 vcc_lo, 0x40900000, v[12:13]
	v_cmp_ngt_f64_e64 s0, 0xc090cc00, v[12:13]
	v_rndne_f64_e32 v[14:15], v[14:15]
	s_delay_alu instid0(VALU_DEP_1) | instskip(SKIP_1) | instid1(VALU_DEP_2)
	v_fmamk_f64 v[16:17], v[14:15], 0xbfe62e42fefa39ef, v[12:13]
	v_cvt_i32_f64_e32 v1, v[14:15]
	v_fmac_f64_e32 v[16:17], 0xbc7abc9e3b39803f, v[14:15]
	s_delay_alu instid0(VALU_DEP_1) | instskip(NEXT) | instid1(VALU_DEP_1)
	v_fmamk_f64 v[18:19], v[16:17], 0x3e5ade156a5dcb37, v[10:11]
	v_fmaak_f64 v[18:19], v[16:17], v[18:19], 0x3ec71dee623fde64
	s_delay_alu instid0(VALU_DEP_1) | instskip(NEXT) | instid1(VALU_DEP_1)
	v_fmaak_f64 v[18:19], v[16:17], v[18:19], 0x3efa01997c89e6b0
	v_fmaak_f64 v[18:19], v[16:17], v[18:19], 0x3f2a01a014761f6e
	s_delay_alu instid0(VALU_DEP_1) | instskip(NEXT) | instid1(VALU_DEP_1)
	v_fmaak_f64 v[18:19], v[16:17], v[18:19], 0x3f56c16c1852b7b0
	v_fmaak_f64 v[18:19], v[16:17], v[18:19], 0x3f81111111122322
	s_delay_alu instid0(VALU_DEP_1) | instskip(NEXT) | instid1(VALU_DEP_1)
	v_fmaak_f64 v[18:19], v[16:17], v[18:19], 0x3fa55555555502a1
	v_fmaak_f64 v[18:19], v[16:17], v[18:19], 0x3fc5555555555511
	s_delay_alu instid0(VALU_DEP_1) | instskip(NEXT) | instid1(VALU_DEP_1)
	v_fmaak_f64 v[18:19], v[16:17], v[18:19], 0x3fe000000000000b
	v_fma_f64 v[18:19], v[16:17], v[18:19], 1.0
	s_delay_alu instid0(VALU_DEP_1) | instskip(NEXT) | instid1(VALU_DEP_1)
	v_fma_f64 v[14:15], v[16:17], v[18:19], 1.0
	v_ldexp_f64 v[14:15], v[14:15], v1
	s_delay_alu instid0(VALU_DEP_1) | instskip(SKIP_2) | instid1(VALU_DEP_1)
	v_cndmask_b32_e32 v1, 0x7ff00000, v15, vcc_lo
	s_and_b32 vcc_lo, s0, vcc_lo
	s_cmp_eq_u32 s1, 0
	v_dual_cndmask_b32 v12, 0, v14, vcc_lo :: v_dual_cndmask_b32 v13, 0, v1, s0
	s_delay_alu instid0(VALU_DEP_1)
	v_mul_f64_e32 v[4:5], v[4:5], v[12:13]
	v_add_nc_u64_e32 v[12:13], s[16:17], v[8:9]
	v_add_nc_u64_e32 v[8:9], s[6:7], v[8:9]
	global_store_b64 v[12:13], v[4:5], off
	s_cbranch_scc0 .LBB7_3
	s_branch .LBB7_5
.LBB7_4:
	v_mov_b64_e32 v[4:5], s[8:9]
.LBB7_5:
	global_load_b64 v[8:9], v0, s[14:15] scale_offset
	s_mov_b64 s[0:1], 0x3e5ade156a5dcb37
	s_wait_loadcnt 0x0
	v_fmac_f64_e32 v[2:3], v[6:7], v[8:9]
	s_delay_alu instid0(VALU_DEP_1) | instskip(SKIP_1) | instid1(VALU_DEP_2)
	v_mul_f64_e32 v[6:7], 0x3ff71547652b82fe, v[2:3]
	v_cmp_nlt_f64_e32 vcc_lo, 0x40900000, v[2:3]
	v_rndne_f64_e32 v[6:7], v[6:7]
	s_delay_alu instid0(VALU_DEP_1) | instskip(SKIP_1) | instid1(VALU_DEP_2)
	v_fmamk_f64 v[8:9], v[6:7], 0xbfe62e42fefa39ef, v[2:3]
	v_cvt_i32_f64_e32 v1, v[6:7]
	v_fmamk_f64 v[8:9], v[6:7], 0xbc7abc9e3b39803f, v[8:9]
	s_delay_alu instid0(VALU_DEP_1) | instskip(SKIP_1) | instid1(VALU_DEP_2)
	v_fmaak_f64 v[10:11], s[0:1], v[8:9], 0x3e928af3fca7ab0c
	v_cmp_ngt_f64_e64 s0, 0xc090cc00, v[2:3]
	v_fmaak_f64 v[10:11], v[8:9], v[10:11], 0x3ec71dee623fde64
	s_delay_alu instid0(VALU_DEP_1) | instskip(NEXT) | instid1(VALU_DEP_1)
	v_fmaak_f64 v[10:11], v[8:9], v[10:11], 0x3efa01997c89e6b0
	v_fmaak_f64 v[10:11], v[8:9], v[10:11], 0x3f2a01a014761f6e
	s_delay_alu instid0(VALU_DEP_1) | instskip(NEXT) | instid1(VALU_DEP_1)
	v_fmaak_f64 v[10:11], v[8:9], v[10:11], 0x3f56c16c1852b7b0
	;; [unrolled: 3-line block ×4, first 2 shown]
	v_fma_f64 v[10:11], v[8:9], v[10:11], 1.0
	s_delay_alu instid0(VALU_DEP_1) | instskip(NEXT) | instid1(VALU_DEP_1)
	v_fma_f64 v[6:7], v[8:9], v[10:11], 1.0
	v_ldexp_f64 v[6:7], v[6:7], v1
	s_delay_alu instid0(VALU_DEP_1)
	v_cndmask_b32_e32 v1, 0x7ff00000, v7, vcc_lo
	s_and_b32 vcc_lo, s0, vcc_lo
	s_delay_alu instid0(VALU_DEP_1) | instid1(SALU_CYCLE_1)
	v_dual_cndmask_b32 v2, 0, v6, vcc_lo :: v_dual_cndmask_b32 v3, 0, v1, s0
	s_delay_alu instid0(VALU_DEP_1) | instskip(NEXT) | instid1(VALU_DEP_1)
	v_fma_f64 v[2:3], v[4:5], v[2:3], -s[4:5]
	v_max_num_f64_e32 v[2:3], 0, v[2:3]
	global_store_b64 v0, v[2:3], s[16:17] scale_offset
.LBB7_6:
	s_endpgm
	.section	.rodata,"a",@progbits
	.p2align	6, 0x0
	.amdhsa_kernel _Z21generate_paths_kernelILi256E10PayoffCallEviiT0_ddddPKdPd
		.amdhsa_group_segment_fixed_size 0
		.amdhsa_private_segment_fixed_size 0
		.amdhsa_kernarg_size 64
		.amdhsa_user_sgpr_count 2
		.amdhsa_user_sgpr_dispatch_ptr 0
		.amdhsa_user_sgpr_queue_ptr 0
		.amdhsa_user_sgpr_kernarg_segment_ptr 1
		.amdhsa_user_sgpr_dispatch_id 0
		.amdhsa_user_sgpr_kernarg_preload_length 0
		.amdhsa_user_sgpr_kernarg_preload_offset 0
		.amdhsa_user_sgpr_private_segment_size 0
		.amdhsa_wavefront_size32 1
		.amdhsa_uses_dynamic_stack 0
		.amdhsa_enable_private_segment 0
		.amdhsa_system_sgpr_workgroup_id_x 1
		.amdhsa_system_sgpr_workgroup_id_y 0
		.amdhsa_system_sgpr_workgroup_id_z 0
		.amdhsa_system_sgpr_workgroup_info 0
		.amdhsa_system_vgpr_workitem_id 0
		.amdhsa_next_free_vgpr 20
		.amdhsa_next_free_sgpr 18
		.amdhsa_named_barrier_count 0
		.amdhsa_reserve_vcc 1
		.amdhsa_float_round_mode_32 0
		.amdhsa_float_round_mode_16_64 0
		.amdhsa_float_denorm_mode_32 3
		.amdhsa_float_denorm_mode_16_64 3
		.amdhsa_fp16_overflow 0
		.amdhsa_memory_ordered 1
		.amdhsa_forward_progress 1
		.amdhsa_inst_pref_size 8
		.amdhsa_round_robin_scheduling 0
		.amdhsa_exception_fp_ieee_invalid_op 0
		.amdhsa_exception_fp_denorm_src 0
		.amdhsa_exception_fp_ieee_div_zero 0
		.amdhsa_exception_fp_ieee_overflow 0
		.amdhsa_exception_fp_ieee_underflow 0
		.amdhsa_exception_fp_ieee_inexact 0
		.amdhsa_exception_int_div_zero 0
	.end_amdhsa_kernel
	.section	.text._Z21generate_paths_kernelILi256E10PayoffCallEviiT0_ddddPKdPd,"axG",@progbits,_Z21generate_paths_kernelILi256E10PayoffCallEviiT0_ddddPKdPd,comdat
.Lfunc_end7:
	.size	_Z21generate_paths_kernelILi256E10PayoffCallEviiT0_ddddPKdPd, .Lfunc_end7-_Z21generate_paths_kernelILi256E10PayoffCallEviiT0_ddddPKdPd
                                        ; -- End function
	.set _Z21generate_paths_kernelILi256E10PayoffCallEviiT0_ddddPKdPd.num_vgpr, 20
	.set _Z21generate_paths_kernelILi256E10PayoffCallEviiT0_ddddPKdPd.num_agpr, 0
	.set _Z21generate_paths_kernelILi256E10PayoffCallEviiT0_ddddPKdPd.numbered_sgpr, 18
	.set _Z21generate_paths_kernelILi256E10PayoffCallEviiT0_ddddPKdPd.num_named_barrier, 0
	.set _Z21generate_paths_kernelILi256E10PayoffCallEviiT0_ddddPKdPd.private_seg_size, 0
	.set _Z21generate_paths_kernelILi256E10PayoffCallEviiT0_ddddPKdPd.uses_vcc, 1
	.set _Z21generate_paths_kernelILi256E10PayoffCallEviiT0_ddddPKdPd.uses_flat_scratch, 0
	.set _Z21generate_paths_kernelILi256E10PayoffCallEviiT0_ddddPKdPd.has_dyn_sized_stack, 0
	.set _Z21generate_paths_kernelILi256E10PayoffCallEviiT0_ddddPKdPd.has_recursion, 0
	.set _Z21generate_paths_kernelILi256E10PayoffCallEviiT0_ddddPKdPd.has_indirect_call, 0
	.section	.AMDGPU.csdata,"",@progbits
; Kernel info:
; codeLenInByte = 1016
; TotalNumSgprs: 20
; NumVgprs: 20
; ScratchSize: 0
; MemoryBound: 0
; FloatMode: 240
; IeeeMode: 1
; LDSByteSize: 0 bytes/workgroup (compile time only)
; SGPRBlocks: 0
; VGPRBlocks: 1
; NumSGPRsForWavesPerEU: 20
; NumVGPRsForWavesPerEU: 20
; NamedBarCnt: 0
; Occupancy: 16
; WaveLimiterHint : 0
; COMPUTE_PGM_RSRC2:SCRATCH_EN: 0
; COMPUTE_PGM_RSRC2:USER_SGPR: 2
; COMPUTE_PGM_RSRC2:TRAP_HANDLER: 0
; COMPUTE_PGM_RSRC2:TGID_X_EN: 1
; COMPUTE_PGM_RSRC2:TGID_Y_EN: 0
; COMPUTE_PGM_RSRC2:TGID_Z_EN: 0
; COMPUTE_PGM_RSRC2:TIDIG_COMP_CNT: 0
	.section	.text._Z18prepare_svd_kernelILi256E10PayoffCallEviiT0_PKdPiPd,"axG",@progbits,_Z18prepare_svd_kernelILi256E10PayoffCallEviiT0_PKdPiPd,comdat
	.protected	_Z18prepare_svd_kernelILi256E10PayoffCallEviiT0_PKdPiPd ; -- Begin function _Z18prepare_svd_kernelILi256E10PayoffCallEviiT0_PKdPiPd
	.globl	_Z18prepare_svd_kernelILi256E10PayoffCallEviiT0_PKdPiPd
	.p2align	8
	.type	_Z18prepare_svd_kernelILi256E10PayoffCallEviiT0_PKdPiPd,@function
_Z18prepare_svd_kernelILi256E10PayoffCallEviiT0_PKdPiPd: ; @_Z18prepare_svd_kernelILi256E10PayoffCallEviiT0_PKdPiPd
; %bb.0:
	v_cmp_gt_u32_e64 s2, 12, v0
	s_and_saveexec_b32 s3, s2
; %bb.1:
	v_mov_b64_e32 v[2:3], 0
	v_lshlrev_b32_e32 v1, 3, v0
	ds_store_b64 v1, v[2:3] offset:2096
; %bb.2:
	s_or_b32 exec_lo, exec_lo, s3
	s_clause 0x1
	s_load_b64 s[12:13], s[0:1], 0x0
	s_load_b128 s[4:7], s[0:1], 0x18
	s_bfe_u32 s8, ttmp6, 0x4000c
	s_and_b32 s3, ttmp6, 15
	s_add_co_i32 s8, s8, 1
	v_mov_b64_e32 v[2:3], 0
	v_mov_b64_e32 v[4:5], 0
	s_mul_i32 s8, ttmp9, s8
	v_mov_b64_e32 v[6:7], 0
	v_mov_b64_e32 v[8:9], 0
	s_getreg_b32 s9, hwreg(HW_REG_IB_STS2, 6, 4)
	s_add_co_i32 s3, s3, s8
	v_mov_b32_e32 v1, 0
	s_cmp_eq_u32 s9, 0
	s_mov_b32 s14, 0
	s_cselect_b32 s3, ttmp9, s3
	s_mov_b32 s15, exec_lo
	s_wait_dscnt 0x0
	s_barrier_signal -1
	s_barrier_wait -1
	s_wait_kmcnt 0x0
	v_cmpx_gt_i32_e64 s12, v0
	s_cbranch_execz .LBB8_22
; %bb.3:
	s_load_b128 s[8:11], s[0:1], 0x8
	v_dual_mov_b32 v14, 0 :: v_dual_lshlrev_b32 v1, 2, v0
	v_mov_b64_e32 v[2:3], 0
	v_mov_b64_e32 v[4:5], 0
	;; [unrolled: 1-line block ×4, first 2 shown]
	v_add_nc_u32_e32 v12, 0x430, v1
	s_wait_xcnt 0x0
	v_cmp_eq_u32_e64 s0, 0, v0
	v_dual_add_nc_u32 v13, 32, v1 :: v_dual_mov_b32 v15, 0
	v_dual_mov_b32 v1, 0 :: v_dual_mov_b32 v16, v0
	s_mul_i32 s16, s12, s3
	s_branch .LBB8_5
.LBB8_4:                                ;   in Loop: Header=BB8_5 Depth=1
	v_add_nc_u32_e32 v16, 0x100, v16
	s_delay_alu instid0(VALU_DEP_1) | instskip(SKIP_1) | instid1(SALU_CYCLE_1)
	v_cmp_le_i32_e32 vcc_lo, s12, v16
	s_or_b32 s14, vcc_lo, s14
	s_and_not1_b32 exec_lo, exec_lo, s14
	s_cbranch_execz .LBB8_21
.LBB8_5:                                ; =>This Loop Header: Depth=1
                                        ;     Child Loop BB8_7 Depth 2
                                        ;     Child Loop BB8_16 Depth 2
	s_delay_alu instid0(VALU_DEP_1) | instskip(SKIP_4) | instid1(VALU_DEP_1)
	v_add_nc_u32_e32 v10, s16, v16
	s_wait_kmcnt 0x0
	global_load_b64 v[10:11], v10, s[10:11] scale_offset
	s_wait_loadcnt 0x0
	v_cmp_lt_f64_e64 s1, s[8:9], v[10:11]
	v_cndmask_b32_e64 v17, 0, 1, s1
	ds_store_b32 v12, v17
	s_wait_dscnt 0x0
	s_barrier_signal -1
	s_barrier_wait -1
	s_and_saveexec_b32 s17, s0
	s_cbranch_execz .LBB8_8
; %bb.6:                                ;   in Loop: Header=BB8_5 Depth=1
	v_mov_b32_e32 v18, 0
	s_mov_b32 s18, 0
	ds_store_b32 v14, v14 offset:32
.LBB8_7:                                ;   Parent Loop BB8_5 Depth=1
                                        ; =>  This Inner Loop Header: Depth=2
	s_add_co_i32 s19, s18, 0x430
	s_add_co_i32 s20, s18, 0x448
	s_delay_alu instid0(SALU_CYCLE_1)
	v_dual_mov_b32 v19, s19 :: v_dual_mov_b32 v26, s20
	s_add_co_i32 s19, s18, 0x438
	s_add_co_i32 s20, s18, 0x468
	ds_load_2addr_b32 v[20:21], v19 offset1:1
	v_mov_b32_e32 v19, s19
	s_add_co_i32 s19, s18, 0x440
	s_wait_dscnt 0x0
	v_add_nc_u32_e32 v28, v20, v18
	ds_load_2addr_b32 v[22:23], v19 offset1:1
	v_mov_b32_e32 v19, s19
	s_add_co_i32 s19, s18, 0x450
	v_add_nc_u32_e32 v29, v21, v28
	ds_load_2addr_b32 v[24:25], v19 offset1:1
	ds_load_2addr_b32 v[26:27], v26 offset1:1
	v_mov_b32_e32 v18, s19
	s_add_co_i32 s19, s18, 0x458
	s_delay_alu instid0(SALU_CYCLE_1)
	v_mov_b32_e32 v20, s19
	s_add_co_i32 s19, s18, 0x460
	ds_load_2addr_b32 v[18:19], v18 offset1:1
	ds_load_2addr_b32 v[20:21], v20 offset1:1
	s_wait_dscnt 0x4
	v_dual_add_nc_u32 v30, v22, v29 :: v_dual_mov_b32 v22, s19
	s_delay_alu instid0(VALU_DEP_1) | instskip(SKIP_1) | instid1(VALU_DEP_1)
	v_add_nc_u32_e32 v31, v23, v30
	s_wait_dscnt 0x3
	v_add_nc_u32_e32 v32, v24, v31
	s_delay_alu instid0(VALU_DEP_1) | instskip(SKIP_1) | instid1(VALU_DEP_1)
	v_add_nc_u32_e32 v33, v25, v32
	s_wait_dscnt 0x2
	v_dual_add_nc_u32 v26, v26, v33 :: v_dual_mov_b32 v24, s20
	s_delay_alu instid0(VALU_DEP_1) | instskip(SKIP_4) | instid1(VALU_DEP_1)
	v_add_nc_u32_e32 v27, v27, v26
	ds_load_2addr_b32 v[22:23], v22 offset1:1
	ds_load_2addr_b32 v[24:25], v24 offset1:1
	s_wait_dscnt 0x3
	v_add_nc_u32_e32 v34, v18, v27
	v_add_nc_u32_e32 v19, v19, v34
	s_wait_dscnt 0x2
	s_delay_alu instid0(VALU_DEP_1) | instskip(NEXT) | instid1(VALU_DEP_1)
	v_add_nc_u32_e32 v20, v20, v19
	v_add_nc_u32_e32 v21, v21, v20
	s_wait_dscnt 0x1
	s_delay_alu instid0(VALU_DEP_1) | instskip(NEXT) | instid1(VALU_DEP_1)
	v_add_nc_u32_e32 v22, v22, v21
	v_dual_add_nc_u32 v23, v23, v22 :: v_dual_mov_b32 v35, s18
	s_add_co_i32 s18, s18, 64
	s_delay_alu instid0(SALU_CYCLE_1) | instskip(SKIP_1) | instid1(VALU_DEP_1)
	s_cmp_lg_u32 s18, 0x400
	s_wait_dscnt 0x0
	v_add_nc_u32_e32 v24, v24, v23
	ds_store_2addr_b32 v35, v28, v29 offset0:9 offset1:10
	ds_store_2addr_b32 v35, v30, v31 offset0:11 offset1:12
	;; [unrolled: 1-line block ×3, first 2 shown]
	v_add_nc_u32_e32 v18, v25, v24
	ds_store_2addr_b32 v35, v26, v27 offset0:15 offset1:16
	ds_store_2addr_b32 v35, v34, v19 offset0:17 offset1:18
	ds_store_2addr_b32 v35, v20, v21 offset0:19 offset1:20
	ds_store_2addr_b32 v35, v22, v23 offset0:21 offset1:22
	ds_store_2addr_b32 v35, v24, v18 offset0:23 offset1:24
	s_cbranch_scc1 .LBB8_7
.LBB8_8:                                ;   in Loop: Header=BB8_5 Depth=1
	s_or_b32 exec_lo, exec_lo, s17
	v_cmp_lt_i32_e32 vcc_lo, 2, v15
	s_wait_dscnt 0x0
	s_barrier_signal -1
	s_barrier_wait -1
	s_cbranch_vccnz .LBB8_13
; %bb.9:                                ;   in Loop: Header=BB8_5 Depth=1
	ds_load_b32 v18, v14 offset:1056
	s_and_saveexec_b32 s17, s1
	s_cbranch_execz .LBB8_12
; %bb.10:                               ;   in Loop: Header=BB8_5 Depth=1
	ds_load_b32 v19, v13
	s_wait_dscnt 0x0
	v_add_nc_u32_e32 v19, v19, v15
	s_delay_alu instid0(VALU_DEP_1)
	v_cmp_gt_i32_e32 vcc_lo, 3, v19
	s_and_b32 exec_lo, exec_lo, vcc_lo
; %bb.11:                               ;   in Loop: Header=BB8_5 Depth=1
	v_lshlrev_b32_e32 v19, 3, v19
	ds_store_b64 v19, v[10:11] offset:2096
.LBB8_12:                               ;   in Loop: Header=BB8_5 Depth=1
	s_or_b32 exec_lo, exec_lo, s17
	s_wait_dscnt 0x0
	v_add_nc_u32_e32 v15, v18, v15
	s_barrier_signal -1
	s_barrier_wait -1
.LBB8_13:                               ;   in Loop: Header=BB8_5 Depth=1
	s_and_saveexec_b32 s17, s0
; %bb.14:                               ;   in Loop: Header=BB8_5 Depth=1
	ds_store_b32 v14, v14 offset:1060
; %bb.15:                               ;   in Loop: Header=BB8_5 Depth=1
	s_or_b32 exec_lo, exec_lo, s17
	s_delay_alu instid0(SALU_CYCLE_1)
	s_mov_b32 s18, exec_lo
	s_mov_b32 s17, 0
	s_wait_dscnt 0x0
	s_barrier_signal -1
	s_barrier_wait -1
.LBB8_16:                               ;   Parent Loop BB8_5 Depth=1
                                        ; =>  This Inner Loop Header: Depth=2
	s_ctz_i32_b32 s19, s18
	s_delay_alu instid0(SALU_CYCLE_1) | instskip(SKIP_1) | instid1(SALU_CYCLE_1)
	v_readlane_b32 s20, v17, s19
	s_lshl_b32 s19, 1, s19
	s_and_not1_b32 s18, s18, s19
	s_or_b32 s17, s17, s20
	s_cmp_lg_u32 s18, 0
	s_cbranch_scc1 .LBB8_16
; %bb.17:                               ;   in Loop: Header=BB8_5 Depth=1
	v_mbcnt_lo_u32_b32 v18, exec_lo, 0
	s_mov_b32 s18, exec_lo
	s_delay_alu instid0(VALU_DEP_1)
	v_cmpx_eq_u32_e32 0, v18
	s_xor_b32 s18, exec_lo, s18
; %bb.18:                               ;   in Loop: Header=BB8_5 Depth=1
	v_mov_b32_e32 v18, s17
	ds_or_b32 v14, v18 offset:1060
; %bb.19:                               ;   in Loop: Header=BB8_5 Depth=1
	s_or_b32 exec_lo, exec_lo, s18
	s_wait_dscnt 0x0
	s_barrier_signal -1
	s_barrier_wait -1
	ds_load_b32 v18, v14 offset:1060
	s_wait_dscnt 0x0
	v_cmp_eq_u32_e32 vcc_lo, 0, v18
	s_cbranch_vccnz .LBB8_4
; %bb.20:                               ;   in Loop: Header=BB8_5 Depth=1
	v_dual_mul_f64 v[18:19], v[10:11], v[10:11] :: v_dual_add_nc_u32 v1, v1, v17
	v_dual_cndmask_b32 v11, 0, v11, s1 :: v_dual_cndmask_b32 v10, 0, v10, s1
	s_delay_alu instid0(VALU_DEP_1) | instskip(NEXT) | instid1(VALU_DEP_3)
	v_add_f64_e32 v[8:9], v[8:9], v[10:11]
	v_dual_cndmask_b32 v19, 0, v19, s1 :: v_dual_cndmask_b32 v18, 0, v18, s1
	s_delay_alu instid0(VALU_DEP_1)
	v_add_f64_e32 v[6:7], v[6:7], v[18:19]
	v_fmac_f64_e32 v[4:5], v[18:19], v[10:11]
	v_fmac_f64_e32 v[2:3], v[18:19], v[18:19]
	s_branch .LBB8_4
.LBB8_21:
	s_or_b32 exec_lo, exec_lo, s14
.LBB8_22:
	s_delay_alu instid0(SALU_CYCLE_1)
	s_or_b32 exec_lo, exec_lo, s15
	v_cmp_eq_u32_e32 vcc_lo, 0, v0
	s_mov_b32 s1, 0
	s_barrier_signal -1
	s_barrier_wait -1
	s_and_saveexec_b32 s0, vcc_lo
; %bb.23:
	v_mov_b32_e32 v10, 0
	ds_store_b32 v10, v10 offset:1060
; %bb.24:
	s_or_b32 exec_lo, exec_lo, s0
	s_delay_alu instid0(SALU_CYCLE_1)
	s_mov_b32 s0, exec_lo
	s_wait_dscnt 0x0
	s_barrier_signal -1
	s_barrier_wait -1
.LBB8_25:                               ; =>This Inner Loop Header: Depth=1
	s_ctz_i32_b32 s8, s0
	s_delay_alu instid0(SALU_CYCLE_1) | instskip(SKIP_1) | instid1(SALU_CYCLE_1)
	v_readlane_b32 s9, v1, s8
	s_lshl_b32 s8, 1, s8
	s_and_not1_b32 s0, s0, s8
	s_add_co_i32 s1, s1, s9
	s_cmp_lg_u32 s0, 0
	s_cbranch_scc1 .LBB8_25
; %bb.26:
	v_mbcnt_lo_u32_b32 v1, exec_lo, 0
	s_delay_alu instid0(VALU_DEP_1) | instskip(SKIP_1) | instid1(SALU_CYCLE_1)
	v_cmp_eq_u32_e64 s0, 0, v1
	s_and_saveexec_b32 s8, s0
	s_xor_b32 s0, exec_lo, s8
; %bb.27:
	v_dual_mov_b32 v1, 0 :: v_dual_mov_b32 v10, s1
	ds_add_u32 v1, v10 offset:1060
; %bb.28:
	s_or_b32 exec_lo, exec_lo, s0
	v_mov_b32_e32 v1, 0
	s_wait_dscnt 0x0
	s_barrier_signal -1
	s_barrier_wait -1
	ds_load_b32 v1, v1 offset:1060
	s_wait_dscnt 0x0
	v_readfirstlane_b32 s0, v1
	s_cmp_ge_i32 s0, s13
	s_cselect_b32 s0, -1, 0
	s_xor_b32 s1, vcc_lo, -1
	s_delay_alu instid0(SALU_CYCLE_1) | instskip(NEXT) | instid1(SALU_CYCLE_1)
	s_or_b32 s0, s1, s0
	s_and_saveexec_b32 s1, s0
	s_delay_alu instid0(SALU_CYCLE_1)
	s_xor_b32 s12, exec_lo, s1
	s_cbranch_execnz .LBB8_31
; %bb.29:
	s_and_not1_saveexec_b32 s0, s12
	s_cbranch_execnz .LBB8_84
.LBB8_30:
	s_sendmsg sendmsg(MSG_DEALLOC_VGPRS)
	s_endpgm
.LBB8_31:
	s_and_saveexec_b32 s0, vcc_lo
	s_cbranch_execz .LBB8_33
; %bb.32:
	s_mov_b32 s8, 0
	v_mov_b32_e32 v1, 0
	s_mov_b32 s10, s8
	s_mov_b32 s11, s8
	;; [unrolled: 1-line block ×3, first 2 shown]
	v_mov_b64_e32 v[12:13], s[10:11]
	v_mov_b64_e32 v[10:11], s[8:9]
	ds_store_b128 v1, v[10:13]
	ds_store_b128 v1, v[10:13] offset:16
.LBB8_33:
	s_or_b32 exec_lo, exec_lo, s0
	v_mov_b64_e32 v[10:11], 0x8000000000000000
	s_mov_b32 s0, exec_lo
	s_wait_dscnt 0x0
	s_barrier_signal -1
	s_barrier_wait -1
.LBB8_34:                               ; =>This Inner Loop Header: Depth=1
	s_ctz_i32_b32 s1, s0
	s_delay_alu instid0(SALU_CYCLE_1) | instskip(SKIP_2) | instid1(SALU_CYCLE_1)
	v_readlane_b32 s9, v9, s1
	v_readlane_b32 s8, v8, s1
	s_lshl_b32 s1, 1, s1
	s_and_not1_b32 s0, s0, s1
	v_add_f64_e32 v[10:11], s[8:9], v[10:11]
	s_cmp_lg_u32 s0, 0
	s_cbranch_scc1 .LBB8_34
; %bb.35:
	v_mbcnt_lo_u32_b32 v1, exec_lo, 0
	s_delay_alu instid0(VALU_DEP_1) | instskip(SKIP_1) | instid1(SALU_CYCLE_1)
	v_cmp_eq_u32_e64 s0, 0, v1
	s_and_saveexec_b32 s1, s0
	s_xor_b32 s0, exec_lo, s1
; %bb.36:
	v_mov_b32_e32 v1, 0
	ds_add_f64 v1, v[10:11]
; %bb.37:
	s_or_b32 exec_lo, exec_lo, s0
	v_mov_b64_e32 v[8:9], 0x8000000000000000
	s_mov_b32 s0, exec_lo
.LBB8_38:                               ; =>This Inner Loop Header: Depth=1
	s_delay_alu instid0(SALU_CYCLE_1) | instskip(NEXT) | instid1(SALU_CYCLE_1)
	s_ctz_i32_b32 s1, s0
	v_readlane_b32 s9, v7, s1
	v_readlane_b32 s8, v6, s1
	s_lshl_b32 s1, 1, s1
	s_delay_alu instid0(SALU_CYCLE_1)
	s_and_not1_b32 s0, s0, s1
	v_add_f64_e32 v[8:9], s[8:9], v[8:9]
	s_cmp_lg_u32 s0, 0
	s_cbranch_scc1 .LBB8_38
; %bb.39:
	v_mbcnt_lo_u32_b32 v1, exec_lo, 0
	s_delay_alu instid0(VALU_DEP_1) | instskip(SKIP_1) | instid1(SALU_CYCLE_1)
	v_cmp_eq_u32_e64 s0, 0, v1
	s_and_saveexec_b32 s1, s0
	s_xor_b32 s0, exec_lo, s1
; %bb.40:
	v_mov_b32_e32 v1, 0
	ds_add_f64 v1, v[8:9] offset:8
; %bb.41:
	s_or_b32 exec_lo, exec_lo, s0
	v_mov_b64_e32 v[6:7], 0x8000000000000000
	s_mov_b32 s0, exec_lo
.LBB8_42:                               ; =>This Inner Loop Header: Depth=1
	s_delay_alu instid0(SALU_CYCLE_1) | instskip(NEXT) | instid1(SALU_CYCLE_1)
	s_ctz_i32_b32 s1, s0
	v_readlane_b32 s9, v5, s1
	v_readlane_b32 s8, v4, s1
	s_lshl_b32 s1, 1, s1
	s_delay_alu instid0(SALU_CYCLE_1)
	s_and_not1_b32 s0, s0, s1
	v_add_f64_e32 v[6:7], s[8:9], v[6:7]
	s_cmp_lg_u32 s0, 0
	s_cbranch_scc1 .LBB8_42
; %bb.43:
	v_mbcnt_lo_u32_b32 v1, exec_lo, 0
	s_delay_alu instid0(VALU_DEP_1) | instskip(SKIP_1) | instid1(SALU_CYCLE_1)
	v_cmp_eq_u32_e64 s0, 0, v1
	s_and_saveexec_b32 s1, s0
	s_xor_b32 s0, exec_lo, s1
; %bb.44:
	v_mov_b32_e32 v1, 0
	ds_add_f64 v1, v[6:7] offset:16
	;; [unrolled: 24-line block ×3, first 2 shown]
; %bb.49:
	s_or_b32 exec_lo, exec_lo, s0
	s_wait_dscnt 0x0
	s_barrier_signal -1
	s_barrier_wait -1
	s_and_saveexec_b32 s13, vcc_lo
	s_cbranch_execz .LBB8_81
; %bb.50:
	v_mov_b32_e32 v1, 0
	v_mov_b64_e32 v[44:45], 0
	ds_load_b32 v2, v1 offset:1060
	ds_load_b128 v[6:9], v1 offset:2096
	s_wait_dscnt 0x1
	v_cvt_f64_i32_e32 v[18:19], v2
	s_wait_dscnt 0x0
	v_mul_f64_e32 v[34:35], v[6:7], v[6:7]
	s_delay_alu instid0(VALU_DEP_2) | instskip(SKIP_2) | instid1(SALU_CYCLE_1)
	v_cmp_gt_f64_e32 vcc_lo, 0x10000000, v[18:19]
	s_and_b32 s0, vcc_lo, exec_lo
	s_cselect_b32 s0, 0x100, 0
	v_ldexp_f64 v[2:3], v[18:19], s0
	s_cselect_b32 s0, 0xffffff80, 0
	s_delay_alu instid0(VALU_DEP_1) | instskip(SKIP_1) | instid1(TRANS32_DEP_1)
	v_rsq_f64_e32 v[4:5], v[2:3]
	v_cmp_class_f64_e64 vcc_lo, v[2:3], 0x260
	v_mul_f64_e32 v[10:11], v[2:3], v[4:5]
	v_mul_f64_e32 v[4:5], 0.5, v[4:5]
	s_delay_alu instid0(VALU_DEP_1) | instskip(NEXT) | instid1(VALU_DEP_1)
	v_fma_f64 v[12:13], -v[4:5], v[10:11], 0.5
	v_fmac_f64_e32 v[10:11], v[10:11], v[12:13]
	v_fmac_f64_e32 v[4:5], v[4:5], v[12:13]
	s_delay_alu instid0(VALU_DEP_2) | instskip(NEXT) | instid1(VALU_DEP_1)
	v_fma_f64 v[12:13], -v[10:11], v[10:11], v[2:3]
	v_fmac_f64_e32 v[10:11], v[12:13], v[4:5]
	s_delay_alu instid0(VALU_DEP_1) | instskip(NEXT) | instid1(VALU_DEP_1)
	v_fma_f64 v[12:13], -v[10:11], v[10:11], v[2:3]
	v_fmac_f64_e32 v[10:11], v[12:13], v[4:5]
	s_delay_alu instid0(VALU_DEP_1) | instskip(NEXT) | instid1(VALU_DEP_1)
	v_ldexp_f64 v[4:5], v[10:11], s0
	v_dual_cndmask_b32 v3, v5, v3 :: v_dual_cndmask_b32 v2, v4, v2
	v_add_f64_e32 v[4:5], -1.0, v[18:19]
	s_delay_alu instid0(VALU_DEP_2) | instskip(NEXT) | instid1(VALU_DEP_1)
	v_add_f64_e32 v[10:11], 1.0, v[2:3]
	v_div_scale_f64 v[12:13], null, v[10:11], v[10:11], -v[4:5]
	v_div_scale_f64 v[20:21], vcc_lo, -v[4:5], v[10:11], -v[4:5]
	s_delay_alu instid0(VALU_DEP_2) | instskip(SKIP_1) | instid1(TRANS32_DEP_1)
	v_rcp_f64_e32 v[14:15], v[12:13]
	v_nop
	v_fma_f64 v[16:17], -v[12:13], v[14:15], 1.0
	s_delay_alu instid0(VALU_DEP_1) | instskip(NEXT) | instid1(VALU_DEP_1)
	v_fmac_f64_e32 v[14:15], v[14:15], v[16:17]
	v_fma_f64 v[16:17], -v[12:13], v[14:15], 1.0
	s_delay_alu instid0(VALU_DEP_1) | instskip(NEXT) | instid1(VALU_DEP_1)
	v_fmac_f64_e32 v[14:15], v[14:15], v[16:17]
	v_mul_f64_e32 v[16:17], v[20:21], v[14:15]
	s_delay_alu instid0(VALU_DEP_1) | instskip(NEXT) | instid1(VALU_DEP_1)
	v_fma_f64 v[12:13], -v[12:13], v[16:17], v[20:21]
	v_div_fmas_f64 v[12:13], v[12:13], v[14:15], v[16:17]
	s_delay_alu instid0(VALU_DEP_1) | instskip(NEXT) | instid1(VALU_DEP_1)
	v_div_fixup_f64 v[16:17], v[12:13], v[10:11], -v[4:5]
	v_mul_f64_e32 v[10:11], v[16:17], v[16:17]
	v_fmac_f64_e32 v[4:5], v[16:17], v[16:17]
	v_div_scale_f64 v[14:15], null, v[16:17], v[16:17], 1.0
	s_delay_alu instid0(VALU_DEP_3) | instskip(NEXT) | instid1(VALU_DEP_2)
	v_add_f64_e32 v[10:11], v[10:11], v[10:11]
	v_rcp_f64_e32 v[22:23], v[14:15]
	s_delay_alu instid0(VALU_DEP_1) | instskip(SKIP_1) | instid1(TRANS32_DEP_1)
	v_div_scale_f64 v[12:13], null, v[4:5], v[4:5], v[10:11]
	v_div_scale_f64 v[28:29], vcc_lo, v[10:11], v[4:5], v[10:11]
	v_fma_f64 v[26:27], -v[14:15], v[22:23], 1.0
	s_delay_alu instid0(VALU_DEP_3) | instskip(NEXT) | instid1(VALU_DEP_1)
	v_rcp_f64_e32 v[20:21], v[12:13]
	v_fmac_f64_e32 v[22:23], v[22:23], v[26:27]
	s_delay_alu instid0(TRANS32_DEP_1) | instskip(NEXT) | instid1(VALU_DEP_2)
	v_fma_f64 v[24:25], -v[12:13], v[20:21], 1.0
	v_fma_f64 v[26:27], -v[14:15], v[22:23], 1.0
	s_delay_alu instid0(VALU_DEP_2) | instskip(NEXT) | instid1(VALU_DEP_2)
	v_fmac_f64_e32 v[20:21], v[20:21], v[24:25]
	v_fmac_f64_e32 v[22:23], v[22:23], v[26:27]
	s_delay_alu instid0(VALU_DEP_2) | instskip(NEXT) | instid1(VALU_DEP_1)
	v_fma_f64 v[24:25], -v[12:13], v[20:21], 1.0
	v_fmac_f64_e32 v[20:21], v[20:21], v[24:25]
	v_div_scale_f64 v[24:25], s0, 1.0, v[16:17], 1.0
	s_delay_alu instid0(VALU_DEP_2) | instskip(NEXT) | instid1(VALU_DEP_2)
	v_mul_f64_e32 v[26:27], v[28:29], v[20:21]
	v_mul_f64_e32 v[30:31], v[24:25], v[22:23]
	s_delay_alu instid0(VALU_DEP_2) | instskip(NEXT) | instid1(VALU_DEP_2)
	v_fma_f64 v[12:13], -v[12:13], v[26:27], v[28:29]
	v_fma_f64 v[14:15], -v[14:15], v[30:31], v[24:25]
	s_delay_alu instid0(VALU_DEP_2) | instskip(SKIP_2) | instid1(VALU_DEP_2)
	v_div_fmas_f64 v[12:13], v[12:13], v[20:21], v[26:27]
	s_mov_b32 vcc_lo, s0
	s_mov_b64 s[0:1], 0x3c9cd2b297d889bc
	v_div_fmas_f64 v[14:15], v[14:15], v[22:23], v[30:31]
	s_delay_alu instid0(VALU_DEP_2)
	v_div_fixup_f64 v[4:5], v[12:13], v[4:5], v[10:11]
	ds_load_b128 v[20:23], v1
	ds_load_b128 v[10:13], v1 offset:16
	ds_load_b64 v[28:29], v1 offset:2112
	v_div_fixup_f64 v[42:43], v[14:15], v[16:17], 1.0
	s_wait_dscnt 0x2
	v_add_f64_e64 v[14:15], v[20:21], -v[6:7]
	v_fma_f64 v[40:41], -v[6:7], v[6:7], v[22:23]
	v_add_f64_e32 v[20:21], -2.0, v[18:19]
	s_delay_alu instid0(VALU_DEP_4) | instskip(NEXT) | instid1(VALU_DEP_4)
	v_mul_f64_e32 v[32:33], v[42:43], v[4:5]
	v_add_f64_e64 v[22:23], v[14:15], -v[8:9]
	s_delay_alu instid0(VALU_DEP_4) | instskip(NEXT) | instid1(VALU_DEP_3)
	v_fma_f64 v[26:27], -v[8:9], v[8:9], v[40:41]
	v_mul_f64_e32 v[36:37], v[42:43], v[32:33]
	s_delay_alu instid0(VALU_DEP_1) | instskip(NEXT) | instid1(VALU_DEP_1)
	v_mul_f64_e32 v[30:31], v[14:15], v[36:37]
	v_fmac_f64_e32 v[30:31], v[6:7], v[32:33]
	s_delay_alu instid0(VALU_DEP_1) | instskip(SKIP_1) | instid1(VALU_DEP_2)
	v_add_f64_e32 v[24:25], v[30:31], v[30:31]
	v_mul_f64_e32 v[38:39], v[20:21], v[30:31]
	v_fma_f64 v[20:21], -v[22:23], v[24:25], v[26:27]
	v_add_f64_e64 v[24:25], -v[4:5], 1.0
	v_mul_f64_e32 v[4:5], v[14:15], v[32:33]
	v_mul_f64_e32 v[14:15], v[40:41], v[32:33]
	s_delay_alu instid0(VALU_DEP_4) | instskip(NEXT) | instid1(VALU_DEP_3)
	v_fmac_f64_e32 v[20:21], v[30:31], v[38:39]
	v_fma_f64 v[4:5], v[6:7], v[24:25], -v[4:5]
	s_delay_alu instid0(VALU_DEP_3)
	v_fma_f64 v[14:15], v[34:35], v[24:25], -v[14:15]
	v_add_f64_e64 v[24:25], v[8:9], -v[30:31]
	ds_store_b128 v1, v[2:5] offset:2096
	ds_store_b64 v1, v[14:15] offset:2112
	v_cmp_lt_f64_e64 s0, |v[20:21]|, s[0:1]
	s_and_b32 vcc_lo, exec_lo, s0
	s_cbranch_vccnz .LBB8_56
; %bb.51:
	v_fma_f64 v[16:17], v[24:25], v[24:25], v[20:21]
	s_delay_alu instid0(VALU_DEP_1) | instskip(SKIP_2) | instid1(SALU_CYCLE_1)
	v_cmp_gt_f64_e32 vcc_lo, 0x10000000, v[16:17]
	s_and_b32 s0, vcc_lo, exec_lo
	s_cselect_b32 s0, 0x100, 0
	v_ldexp_f64 v[16:17], v[16:17], s0
	s_cselect_b32 s0, 0xffffff80, 0
	s_delay_alu instid0(VALU_DEP_1) | instskip(SKIP_1) | instid1(TRANS32_DEP_1)
	v_rsq_f64_e32 v[42:43], v[16:17]
	v_cmp_class_f64_e64 vcc_lo, v[16:17], 0x260
	v_mul_f64_e32 v[44:45], v[16:17], v[42:43]
	v_mul_f64_e32 v[42:43], 0.5, v[42:43]
	s_delay_alu instid0(VALU_DEP_1) | instskip(NEXT) | instid1(VALU_DEP_1)
	v_fma_f64 v[46:47], -v[42:43], v[44:45], 0.5
	v_fmac_f64_e32 v[44:45], v[44:45], v[46:47]
	v_fmac_f64_e32 v[42:43], v[42:43], v[46:47]
	s_delay_alu instid0(VALU_DEP_2) | instskip(NEXT) | instid1(VALU_DEP_1)
	v_fma_f64 v[46:47], -v[44:45], v[44:45], v[16:17]
	v_fmac_f64_e32 v[44:45], v[46:47], v[42:43]
	s_delay_alu instid0(VALU_DEP_1) | instskip(NEXT) | instid1(VALU_DEP_1)
	v_fma_f64 v[46:47], -v[44:45], v[44:45], v[16:17]
	v_fmac_f64_e32 v[44:45], v[46:47], v[42:43]
	s_delay_alu instid0(VALU_DEP_1) | instskip(SKIP_1) | instid1(VALU_DEP_2)
	v_ldexp_f64 v[42:43], v[44:45], s0
	v_cmp_nge_f64_e64 s0, 0, v[24:25]
	v_dual_cndmask_b32 v43, v43, v17 :: v_dual_cndmask_b32 v42, v42, v16
	s_and_b32 vcc_lo, exec_lo, s0
	s_cbranch_vccnz .LBB8_53
; %bb.52:
	s_delay_alu instid0(VALU_DEP_1)
	v_add_f64_e64 v[16:17], v[24:25], -v[42:43]
	s_cbranch_execz .LBB8_54
	s_branch .LBB8_55
.LBB8_53:
                                        ; implicit-def: $vgpr16_vgpr17
.LBB8_54:
	s_delay_alu instid0(VALU_DEP_1) | instskip(NEXT) | instid1(VALU_DEP_1)
	v_add_f64_e32 v[16:17], v[24:25], v[42:43]
	v_div_scale_f64 v[42:43], null, v[16:17], v[16:17], -v[20:21]
	s_delay_alu instid0(VALU_DEP_1) | instskip(SKIP_1) | instid1(TRANS32_DEP_1)
	v_rcp_f64_e32 v[44:45], v[42:43]
	v_nop
	v_fma_f64 v[46:47], -v[42:43], v[44:45], 1.0
	s_delay_alu instid0(VALU_DEP_1) | instskip(NEXT) | instid1(VALU_DEP_1)
	v_fmac_f64_e32 v[44:45], v[44:45], v[46:47]
	v_fma_f64 v[46:47], -v[42:43], v[44:45], 1.0
	s_delay_alu instid0(VALU_DEP_1) | instskip(SKIP_1) | instid1(VALU_DEP_1)
	v_fmac_f64_e32 v[44:45], v[44:45], v[46:47]
	v_div_scale_f64 v[46:47], vcc_lo, -v[20:21], v[16:17], -v[20:21]
	v_mul_f64_e32 v[48:49], v[46:47], v[44:45]
	s_delay_alu instid0(VALU_DEP_1) | instskip(NEXT) | instid1(VALU_DEP_1)
	v_fma_f64 v[42:43], -v[42:43], v[48:49], v[46:47]
	v_div_fmas_f64 v[42:43], v[42:43], v[44:45], v[48:49]
	s_delay_alu instid0(VALU_DEP_1)
	v_div_fixup_f64 v[16:17], v[42:43], v[16:17], -v[20:21]
.LBB8_55:
	s_delay_alu instid0(VALU_DEP_1) | instskip(SKIP_2) | instid1(VALU_DEP_3)
	v_mul_f64_e32 v[42:43], v[16:17], v[16:17]
	v_fma_f64 v[44:45], v[16:17], v[16:17], v[20:21]
	v_div_scale_f64 v[48:49], null, v[16:17], v[16:17], 1.0
	v_add_f64_e32 v[42:43], v[42:43], v[42:43]
	s_delay_alu instid0(VALU_DEP_2) | instskip(NEXT) | instid1(VALU_DEP_1)
	v_rcp_f64_e32 v[52:53], v[48:49]
	v_div_scale_f64 v[46:47], null, v[44:45], v[44:45], v[42:43]
	v_div_scale_f64 v[58:59], vcc_lo, v[42:43], v[44:45], v[42:43]
	s_delay_alu instid0(TRANS32_DEP_1) | instskip(NEXT) | instid1(VALU_DEP_3)
	v_fma_f64 v[56:57], -v[48:49], v[52:53], 1.0
	v_rcp_f64_e32 v[50:51], v[46:47]
	s_delay_alu instid0(VALU_DEP_1) | instskip(NEXT) | instid1(TRANS32_DEP_1)
	v_fmac_f64_e32 v[52:53], v[52:53], v[56:57]
	v_fma_f64 v[54:55], -v[46:47], v[50:51], 1.0
	s_delay_alu instid0(VALU_DEP_2) | instskip(NEXT) | instid1(VALU_DEP_2)
	v_fma_f64 v[56:57], -v[48:49], v[52:53], 1.0
	v_fmac_f64_e32 v[50:51], v[50:51], v[54:55]
	s_delay_alu instid0(VALU_DEP_2) | instskip(NEXT) | instid1(VALU_DEP_2)
	v_fmac_f64_e32 v[52:53], v[52:53], v[56:57]
	v_fma_f64 v[54:55], -v[46:47], v[50:51], 1.0
	s_delay_alu instid0(VALU_DEP_1) | instskip(SKIP_1) | instid1(VALU_DEP_2)
	v_fmac_f64_e32 v[50:51], v[50:51], v[54:55]
	v_div_scale_f64 v[54:55], s0, 1.0, v[16:17], 1.0
	v_mul_f64_e32 v[56:57], v[58:59], v[50:51]
	s_delay_alu instid0(VALU_DEP_2) | instskip(NEXT) | instid1(VALU_DEP_2)
	v_mul_f64_e32 v[60:61], v[54:55], v[52:53]
	v_fma_f64 v[46:47], -v[46:47], v[56:57], v[58:59]
	s_delay_alu instid0(VALU_DEP_2) | instskip(NEXT) | instid1(VALU_DEP_2)
	v_fma_f64 v[48:49], -v[48:49], v[60:61], v[54:55]
	v_div_fmas_f64 v[46:47], v[46:47], v[50:51], v[56:57]
	s_mov_b32 vcc_lo, s0
	s_delay_alu instid0(VALU_DEP_2) | instskip(NEXT) | instid1(VALU_DEP_2)
	v_div_fmas_f64 v[48:49], v[48:49], v[52:53], v[60:61]
	v_div_fixup_f64 v[44:45], v[46:47], v[44:45], v[42:43]
	s_delay_alu instid0(VALU_DEP_2)
	v_div_fixup_f64 v[42:43], v[48:49], v[16:17], 1.0
.LBB8_56:
	v_mul_f64_e32 v[46:47], v[8:9], v[8:9]
	s_wait_dscnt 0x3
	v_fma_f64 v[6:7], -v[6:7], v[34:35], v[10:11]
	v_mul_f64_e32 v[10:11], v[40:41], v[36:37]
	v_fma_f64 v[12:13], -v[34:35], v[34:35], v[12:13]
	v_add_f64_e32 v[18:19], 0xc0080000, v[18:19]
	s_mov_b64 s[0:1], 0x3d719799812dea11
	v_mov_b32_e32 v1, 0x848
	v_fma_f64 v[6:7], -v[8:9], v[46:47], v[6:7]
	v_fmac_f64_e32 v[10:11], v[34:35], v[32:33]
	v_mul_f64_e32 v[32:33], v[42:43], v[44:45]
	s_wait_dscnt 0x2
	v_mul_f64_e32 v[34:35], v[28:29], v[28:29]
	v_fma_f64 v[12:13], -v[46:47], v[46:47], v[12:13]
	v_fma_f64 v[8:9], -v[26:27], v[30:31], v[6:7]
	v_add_f64_e64 v[36:37], v[46:47], -v[10:11]
	v_fma_f64 v[26:27], -v[28:29], v[28:29], v[26:27]
	v_fma_f64 v[6:7], -v[28:29], v[34:35], v[6:7]
	s_delay_alu instid0(VALU_DEP_4) | instskip(NEXT) | instid1(VALU_DEP_1)
	v_fma_f64 v[8:9], -v[22:23], v[10:11], v[8:9]
	v_fmac_f64_e32 v[8:9], v[10:11], v[38:39]
	s_delay_alu instid0(VALU_DEP_1) | instskip(NEXT) | instid1(VALU_DEP_1)
	v_mul_f64_e32 v[8:9], v[8:9], v[32:33]
	v_mul_f64_e32 v[38:39], v[42:43], v[8:9]
	s_delay_alu instid0(VALU_DEP_1) | instskip(NEXT) | instid1(VALU_DEP_1)
	v_fmac_f64_e32 v[38:39], v[36:37], v[32:33]
	v_fma_f64 v[30:31], v[30:31], v[38:39], -v[10:11]
	v_fma_f64 v[10:11], -v[34:35], v[34:35], v[12:13]
	v_add_f64_e32 v[12:13], v[38:39], v[38:39]
	s_delay_alu instid0(VALU_DEP_3) | instskip(NEXT) | instid1(VALU_DEP_2)
	v_add_f64_e32 v[40:41], v[30:31], v[30:31]
	v_fma_f64 v[6:7], -v[6:7], v[12:13], v[10:11]
	v_add_f64_e64 v[10:11], v[22:23], -v[28:29]
	v_mul_f64_e32 v[12:13], v[12:13], v[30:31]
	s_delay_alu instid0(VALU_DEP_4) | instskip(NEXT) | instid1(VALU_DEP_1)
	v_fmac_f64_e32 v[40:41], v[38:39], v[38:39]
	v_fmac_f64_e32 v[6:7], v[26:27], v[40:41]
	s_delay_alu instid0(VALU_DEP_1) | instskip(SKIP_4) | instid1(VALU_DEP_4)
	v_fma_f64 v[10:11], -v[10:11], v[12:13], v[6:7]
	v_mul_f64_e32 v[6:7], v[18:19], v[30:31]
	v_add_f64_e64 v[12:13], -v[44:45], 1.0
	v_mul_f64_e32 v[18:19], v[20:21], v[32:33]
	v_fma_f64 v[20:21], -v[28:29], v[38:39], v[34:35]
	v_fmac_f64_e32 v[10:11], v[30:31], v[6:7]
	s_delay_alu instid0(VALU_DEP_4) | instskip(NEXT) | instid1(VALU_DEP_4)
	v_fma_f64 v[8:9], v[36:37], v[12:13], -v[8:9]
	v_fma_f64 v[6:7], v[24:25], v[12:13], -v[18:19]
	s_delay_alu instid0(VALU_DEP_4)
	v_add_f64_e32 v[12:13], v[20:21], v[30:31]
	v_mov_b64_e32 v[18:19], 0
	v_cmp_lt_f64_e64 s0, |v[10:11]|, s[0:1]
	ds_store_2addr_b64 v1, v[6:7], v[8:9] offset1:1
	s_and_b32 vcc_lo, exec_lo, s0
	s_cbranch_vccnz .LBB8_62
; %bb.57:
	v_fma_f64 v[16:17], v[12:13], v[12:13], v[10:11]
	s_delay_alu instid0(VALU_DEP_1) | instskip(SKIP_2) | instid1(SALU_CYCLE_1)
	v_cmp_gt_f64_e32 vcc_lo, 0x10000000, v[16:17]
	s_and_b32 s0, vcc_lo, exec_lo
	s_cselect_b32 s0, 0x100, 0
	v_ldexp_f64 v[16:17], v[16:17], s0
	s_cselect_b32 s0, 0xffffff80, 0
	s_delay_alu instid0(VALU_DEP_1) | instskip(SKIP_1) | instid1(TRANS32_DEP_1)
	v_rsq_f64_e32 v[18:19], v[16:17]
	v_cmp_class_f64_e64 vcc_lo, v[16:17], 0x260
	v_mul_f64_e32 v[20:21], v[16:17], v[18:19]
	v_mul_f64_e32 v[18:19], 0.5, v[18:19]
	s_delay_alu instid0(VALU_DEP_1) | instskip(NEXT) | instid1(VALU_DEP_1)
	v_fma_f64 v[22:23], -v[18:19], v[20:21], 0.5
	v_fmac_f64_e32 v[20:21], v[20:21], v[22:23]
	v_fmac_f64_e32 v[18:19], v[18:19], v[22:23]
	s_delay_alu instid0(VALU_DEP_2) | instskip(NEXT) | instid1(VALU_DEP_1)
	v_fma_f64 v[22:23], -v[20:21], v[20:21], v[16:17]
	v_fmac_f64_e32 v[20:21], v[22:23], v[18:19]
	s_delay_alu instid0(VALU_DEP_1) | instskip(NEXT) | instid1(VALU_DEP_1)
	v_fma_f64 v[22:23], -v[20:21], v[20:21], v[16:17]
	v_fmac_f64_e32 v[20:21], v[22:23], v[18:19]
	s_delay_alu instid0(VALU_DEP_1) | instskip(SKIP_1) | instid1(VALU_DEP_2)
	v_ldexp_f64 v[18:19], v[20:21], s0
	v_cmp_nge_f64_e64 s0, 0, v[12:13]
	v_dual_cndmask_b32 v19, v19, v17 :: v_dual_cndmask_b32 v18, v18, v16
	s_and_b32 vcc_lo, exec_lo, s0
	s_mov_b32 s0, 0
	s_cbranch_vccnz .LBB8_59
; %bb.58:
	s_delay_alu instid0(VALU_DEP_1)
	v_add_f64_e64 v[16:17], v[12:13], -v[18:19]
	s_and_not1_b32 vcc_lo, exec_lo, s0
	s_cbranch_vccz .LBB8_60
	s_branch .LBB8_61
.LBB8_59:
                                        ; implicit-def: $vgpr16_vgpr17
.LBB8_60:
	s_delay_alu instid0(VALU_DEP_1) | instskip(NEXT) | instid1(VALU_DEP_1)
	v_add_f64_e32 v[16:17], v[12:13], v[18:19]
	v_div_scale_f64 v[18:19], null, v[16:17], v[16:17], -v[10:11]
	s_delay_alu instid0(VALU_DEP_1) | instskip(SKIP_1) | instid1(TRANS32_DEP_1)
	v_rcp_f64_e32 v[20:21], v[18:19]
	v_nop
	v_fma_f64 v[22:23], -v[18:19], v[20:21], 1.0
	s_delay_alu instid0(VALU_DEP_1) | instskip(NEXT) | instid1(VALU_DEP_1)
	v_fmac_f64_e32 v[20:21], v[20:21], v[22:23]
	v_fma_f64 v[22:23], -v[18:19], v[20:21], 1.0
	s_delay_alu instid0(VALU_DEP_1) | instskip(SKIP_1) | instid1(VALU_DEP_1)
	v_fmac_f64_e32 v[20:21], v[20:21], v[22:23]
	v_div_scale_f64 v[22:23], vcc_lo, -v[10:11], v[16:17], -v[10:11]
	v_mul_f64_e32 v[24:25], v[22:23], v[20:21]
	s_delay_alu instid0(VALU_DEP_1) | instskip(NEXT) | instid1(VALU_DEP_1)
	v_fma_f64 v[18:19], -v[18:19], v[24:25], v[22:23]
	v_div_fmas_f64 v[18:19], v[18:19], v[20:21], v[24:25]
	s_delay_alu instid0(VALU_DEP_1)
	v_div_fixup_f64 v[16:17], v[18:19], v[16:17], -v[10:11]
.LBB8_61:
	s_delay_alu instid0(VALU_DEP_1) | instskip(SKIP_1) | instid1(VALU_DEP_2)
	v_mul_f64_e32 v[18:19], v[16:17], v[16:17]
	v_fma_f64 v[20:21], v[16:17], v[16:17], v[10:11]
	v_add_f64_e32 v[18:19], v[18:19], v[18:19]
	s_delay_alu instid0(VALU_DEP_1) | instskip(NEXT) | instid1(VALU_DEP_1)
	v_div_scale_f64 v[22:23], null, v[20:21], v[20:21], v[18:19]
	v_rcp_f64_e32 v[24:25], v[22:23]
	v_nop
	s_delay_alu instid0(TRANS32_DEP_1) | instskip(NEXT) | instid1(VALU_DEP_1)
	v_fma_f64 v[26:27], -v[22:23], v[24:25], 1.0
	v_fmac_f64_e32 v[24:25], v[24:25], v[26:27]
	s_delay_alu instid0(VALU_DEP_1) | instskip(NEXT) | instid1(VALU_DEP_1)
	v_fma_f64 v[26:27], -v[22:23], v[24:25], 1.0
	v_fmac_f64_e32 v[24:25], v[24:25], v[26:27]
	v_div_scale_f64 v[26:27], vcc_lo, v[18:19], v[20:21], v[18:19]
	s_delay_alu instid0(VALU_DEP_1) | instskip(NEXT) | instid1(VALU_DEP_1)
	v_mul_f64_e32 v[28:29], v[26:27], v[24:25]
	v_fma_f64 v[22:23], -v[22:23], v[28:29], v[26:27]
	s_delay_alu instid0(VALU_DEP_1) | instskip(NEXT) | instid1(VALU_DEP_1)
	v_div_fmas_f64 v[22:23], v[22:23], v[24:25], v[28:29]
	v_div_fixup_f64 v[18:19], v[22:23], v[20:21], v[18:19]
.LBB8_62:
	v_dual_mul_f64 v[48:49], v[2:3], v[4:5] :: v_dual_mov_b32 v1, 0
	v_mul_f64_e32 v[30:31], v[2:3], v[14:15]
	v_mul_f64_e32 v[34:35], v[6:7], v[8:9]
	s_delay_alu instid0(VALU_DEP_4)
	v_div_scale_f64 v[22:23], null, v[16:17], v[16:17], v[18:19]
	s_mov_b64 s[8:9], 0x3d719799812dea11
	s_mov_b32 s10, 0
	v_mul_f64_e32 v[20:21], v[48:49], v[48:49]
	v_fmac_f64_e32 v[34:35], v[4:5], v[14:15]
	v_rcp_f64_e32 v[24:25], v[22:23]
	s_delay_alu instid0(VALU_DEP_2) | instskip(NEXT) | instid1(TRANS32_DEP_1)
	v_fmac_f64_e32 v[20:21], v[30:31], v[30:31]
	v_fma_f64 v[26:27], -v[22:23], v[24:25], 1.0
	s_delay_alu instid0(VALU_DEP_2) | instskip(NEXT) | instid1(VALU_DEP_2)
	v_fmac_f64_e32 v[20:21], v[34:35], v[34:35]
	v_fmac_f64_e32 v[24:25], v[24:25], v[26:27]
	s_delay_alu instid0(VALU_DEP_2) | instskip(NEXT) | instid1(VALU_DEP_2)
	v_add_f64_e32 v[20:21], v[20:21], v[20:21]
	v_fma_f64 v[32:33], -v[22:23], v[24:25], 1.0
	s_delay_alu instid0(VALU_DEP_2) | instskip(NEXT) | instid1(VALU_DEP_2)
	v_cmp_gt_f64_e32 vcc_lo, 0x10000000, v[20:21]
	v_fmac_f64_e32 v[24:25], v[24:25], v[32:33]
	s_and_b32 s0, vcc_lo, exec_lo
	s_cselect_b32 s0, 0x100, 0
	v_div_scale_f64 v[38:39], vcc_lo, v[18:19], v[16:17], v[18:19]
	v_ldexp_f64 v[20:21], v[20:21], s0
	s_cselect_b32 s0, 0xffffff80, 0
	s_delay_alu instid0(VALU_DEP_2) | instskip(NEXT) | instid1(VALU_DEP_2)
	v_mul_f64_e32 v[32:33], v[38:39], v[24:25]
	v_rsq_f64_e32 v[28:29], v[20:21]
	s_delay_alu instid0(VALU_DEP_1) | instskip(NEXT) | instid1(TRANS32_DEP_1)
	v_fma_f64 v[22:23], -v[22:23], v[32:33], v[38:39]
	v_mul_f64_e32 v[26:27], v[20:21], v[28:29]
	v_mul_f64_e32 v[28:29], 0.5, v[28:29]
	s_delay_alu instid0(VALU_DEP_3) | instskip(SKIP_2) | instid1(VALU_DEP_4)
	v_div_fmas_f64 v[22:23], v[22:23], v[24:25], v[32:33]
	v_cmp_class_f64_e64 vcc_lo, v[20:21], 0x260
	v_mul_f64_e32 v[32:33], v[6:7], v[6:7]
	v_fma_f64 v[36:37], -v[28:29], v[26:27], 0.5
	s_delay_alu instid0(VALU_DEP_4)
	v_div_fixup_f64 v[16:17], v[22:23], v[16:17], v[18:19]
	v_add_f64_e64 v[22:23], -v[18:19], 1.0
	v_mul_f64_e32 v[18:19], v[8:9], v[8:9]
	v_fmac_f64_e32 v[32:33], v[4:5], v[4:5]
	v_fmac_f64_e32 v[26:27], v[26:27], v[36:37]
	;; [unrolled: 1-line block ×3, first 2 shown]
	v_mul_f64_e32 v[10:11], v[10:11], v[16:17]
	v_fmac_f64_e32 v[18:19], v[14:15], v[14:15]
	s_delay_alu instid0(VALU_DEP_4) | instskip(NEXT) | instid1(VALU_DEP_3)
	v_fma_f64 v[36:37], -v[26:27], v[26:27], v[20:21]
	v_fma_f64 v[10:11], v[12:13], v[22:23], -v[10:11]
	v_mov_b64_e32 v[22:23], 0
	s_delay_alu instid0(VALU_DEP_3) | instskip(NEXT) | instid1(VALU_DEP_3)
	v_fmac_f64_e32 v[26:27], v[36:37], v[28:29]
	v_fmac_f64_e32 v[18:19], v[10:11], v[10:11]
	ds_store_b64 v1, v[10:11] offset:2136
	v_fma_f64 v[24:25], -v[26:27], v[26:27], v[20:21]
	s_delay_alu instid0(VALU_DEP_1) | instskip(SKIP_2) | instid1(VALU_DEP_3)
	v_fmac_f64_e32 v[26:27], v[24:25], v[28:29]
	v_mov_b64_e32 v[24:25], 0
	v_mov_b64_e32 v[28:29], 0
	v_ldexp_f64 v[16:17], v[26:27], s0
	v_mov_b64_e32 v[26:27], 1.0
	s_delay_alu instid0(VALU_DEP_2) | instskip(SKIP_2) | instid1(VALU_DEP_3)
	v_dual_cndmask_b32 v13, v17, v21 :: v_dual_cndmask_b32 v12, v16, v20
	v_mov_b64_e32 v[16:17], 1.0
	v_mov_b64_e32 v[20:21], 0
	v_cmp_nle_f64_e32 vcc_lo, s[8:9], v[12:13]
	v_mul_f64_e32 v[12:13], v[2:3], v[2:3]
	s_cbranch_vccnz .LBB8_72
; %bb.63:
	v_mov_b64_e32 v[36:37], 0
	v_mov_b64_e32 v[40:41], 0
	v_mov_b64_e32 v[42:43], 1.0
	s_mov_b32 s1, 0xbff00000
	s_mov_b32 s14, 0
.LBB8_64:                               ; =>This Inner Loop Header: Depth=1
	v_cmp_eq_f64_e32 vcc_lo, 0, v[48:49]
	v_mov_b64_e32 v[50:51], 0
	v_mov_b64_e32 v[52:53], 1.0
	s_cbranch_vccnz .LBB8_66
; %bb.65:                               ;   in Loop: Header=BB8_64 Depth=1
	v_add_f64_e64 v[38:39], v[32:33], -v[12:13]
	v_add_f64_e32 v[44:45], v[48:49], v[48:49]
	s_delay_alu instid0(VALU_DEP_1) | instskip(SKIP_1) | instid1(VALU_DEP_2)
	v_div_scale_f64 v[46:47], null, v[44:45], v[44:45], v[38:39]
	v_div_scale_f64 v[54:55], vcc_lo, v[38:39], v[44:45], v[38:39]
	v_rcp_f64_e32 v[50:51], v[46:47]
	v_nop
	s_delay_alu instid0(TRANS32_DEP_1) | instskip(NEXT) | instid1(VALU_DEP_1)
	v_fma_f64 v[52:53], -v[46:47], v[50:51], 1.0
	v_fmac_f64_e32 v[50:51], v[50:51], v[52:53]
	s_delay_alu instid0(VALU_DEP_1) | instskip(NEXT) | instid1(VALU_DEP_1)
	v_fma_f64 v[52:53], -v[46:47], v[50:51], 1.0
	v_fmac_f64_e32 v[50:51], v[50:51], v[52:53]
	s_delay_alu instid0(VALU_DEP_1) | instskip(NEXT) | instid1(VALU_DEP_1)
	v_mul_f64_e32 v[52:53], v[54:55], v[50:51]
	v_fma_f64 v[46:47], -v[46:47], v[52:53], v[54:55]
	s_delay_alu instid0(VALU_DEP_1) | instskip(NEXT) | instid1(VALU_DEP_1)
	v_div_fmas_f64 v[46:47], v[46:47], v[50:51], v[52:53]
	v_div_fixup_f64 v[38:39], v[46:47], v[44:45], v[38:39]
	s_delay_alu instid0(VALU_DEP_1) | instskip(SKIP_1) | instid1(VALU_DEP_2)
	v_fma_f64 v[44:45], v[38:39], v[38:39], 1.0
	v_cmp_gt_f64_e32 vcc_lo, 0, v[38:39]
	v_cmp_gt_f64_e64 s0, 0x10000000, v[44:45]
	s_and_b32 s11, vcc_lo, exec_lo
	s_cselect_b32 s11, s1, 0x3ff00000
	s_and_b32 s0, s0, exec_lo
	s_cselect_b32 s0, 0x100, 0
	s_delay_alu instid0(SALU_CYCLE_1) | instskip(SKIP_1) | instid1(VALU_DEP_1)
	v_ldexp_f64 v[44:45], v[44:45], s0
	s_cselect_b32 s0, 0xffffff80, 0
	v_rsq_f64_e32 v[46:47], v[44:45]
	v_cmp_class_f64_e64 vcc_lo, v[44:45], 0x260
	s_delay_alu instid0(TRANS32_DEP_1) | instskip(SKIP_1) | instid1(VALU_DEP_1)
	v_mul_f64_e32 v[50:51], v[44:45], v[46:47]
	v_mul_f64_e32 v[46:47], 0.5, v[46:47]
	v_fma_f64 v[52:53], -v[46:47], v[50:51], 0.5
	s_delay_alu instid0(VALU_DEP_1) | instskip(SKIP_1) | instid1(VALU_DEP_2)
	v_fmac_f64_e32 v[50:51], v[50:51], v[52:53]
	v_fmac_f64_e32 v[46:47], v[46:47], v[52:53]
	v_fma_f64 v[52:53], -v[50:51], v[50:51], v[44:45]
	s_delay_alu instid0(VALU_DEP_1) | instskip(NEXT) | instid1(VALU_DEP_1)
	v_fmac_f64_e32 v[50:51], v[52:53], v[46:47]
	v_fma_f64 v[52:53], -v[50:51], v[50:51], v[44:45]
	s_delay_alu instid0(VALU_DEP_1) | instskip(NEXT) | instid1(VALU_DEP_1)
	v_fmac_f64_e32 v[50:51], v[52:53], v[46:47]
	v_ldexp_f64 v[46:47], v[50:51], s0
	s_delay_alu instid0(VALU_DEP_1) | instskip(NEXT) | instid1(VALU_DEP_1)
	v_dual_cndmask_b32 v45, v47, v45 :: v_dual_cndmask_b32 v44, v46, v44
	v_fmac_f64_e32 v[44:45], s[10:11], v[38:39]
	s_delay_alu instid0(VALU_DEP_1) | instskip(SKIP_1) | instid1(VALU_DEP_2)
	v_div_scale_f64 v[38:39], null, v[44:45], v[44:45], s[10:11]
	v_div_scale_f64 v[52:53], vcc_lo, s[10:11], v[44:45], s[10:11]
	v_rcp_f64_e32 v[46:47], v[38:39]
	v_nop
	s_delay_alu instid0(TRANS32_DEP_1) | instskip(NEXT) | instid1(VALU_DEP_1)
	v_fma_f64 v[50:51], -v[38:39], v[46:47], 1.0
	v_fmac_f64_e32 v[46:47], v[46:47], v[50:51]
	s_delay_alu instid0(VALU_DEP_1) | instskip(NEXT) | instid1(VALU_DEP_1)
	v_fma_f64 v[50:51], -v[38:39], v[46:47], 1.0
	v_fmac_f64_e32 v[46:47], v[46:47], v[50:51]
	s_delay_alu instid0(VALU_DEP_1) | instskip(NEXT) | instid1(VALU_DEP_1)
	v_mul_f64_e32 v[50:51], v[52:53], v[46:47]
	v_fma_f64 v[38:39], -v[38:39], v[50:51], v[52:53]
	s_delay_alu instid0(VALU_DEP_1) | instskip(NEXT) | instid1(VALU_DEP_1)
	v_div_fmas_f64 v[38:39], v[38:39], v[46:47], v[50:51]
	v_div_fixup_f64 v[38:39], v[38:39], v[44:45], s[10:11]
	s_delay_alu instid0(VALU_DEP_1) | instskip(NEXT) | instid1(VALU_DEP_1)
	v_fma_f64 v[44:45], v[38:39], v[38:39], 1.0
	v_cmp_gt_f64_e32 vcc_lo, 0x10000000, v[44:45]
	s_and_b32 s0, vcc_lo, exec_lo
	s_cselect_b32 s0, 0x100, 0
	s_delay_alu instid0(SALU_CYCLE_1) | instskip(SKIP_1) | instid1(VALU_DEP_1)
	v_ldexp_f64 v[44:45], v[44:45], s0
	s_cselect_b32 s0, 0xffffff80, 0
	v_rsq_f64_e32 v[46:47], v[44:45]
	v_cmp_class_f64_e64 vcc_lo, v[44:45], 0x260
	s_delay_alu instid0(TRANS32_DEP_1) | instskip(SKIP_1) | instid1(VALU_DEP_1)
	v_mul_f64_e32 v[50:51], v[44:45], v[46:47]
	v_mul_f64_e32 v[46:47], 0.5, v[46:47]
	v_fma_f64 v[52:53], -v[46:47], v[50:51], 0.5
	s_delay_alu instid0(VALU_DEP_1) | instskip(SKIP_1) | instid1(VALU_DEP_2)
	v_fmac_f64_e32 v[50:51], v[50:51], v[52:53]
	v_fmac_f64_e32 v[46:47], v[46:47], v[52:53]
	v_fma_f64 v[52:53], -v[50:51], v[50:51], v[44:45]
	s_delay_alu instid0(VALU_DEP_1) | instskip(NEXT) | instid1(VALU_DEP_1)
	v_fmac_f64_e32 v[50:51], v[52:53], v[46:47]
	v_fma_f64 v[52:53], -v[50:51], v[50:51], v[44:45]
	s_delay_alu instid0(VALU_DEP_1) | instskip(NEXT) | instid1(VALU_DEP_1)
	v_fmac_f64_e32 v[50:51], v[52:53], v[46:47]
	v_ldexp_f64 v[46:47], v[50:51], s0
	s_delay_alu instid0(VALU_DEP_1) | instskip(NEXT) | instid1(VALU_DEP_1)
	v_dual_cndmask_b32 v45, v47, v45 :: v_dual_cndmask_b32 v44, v46, v44
	v_div_scale_f64 v[46:47], null, v[44:45], v[44:45], 1.0
	s_delay_alu instid0(VALU_DEP_1) | instskip(SKIP_1) | instid1(TRANS32_DEP_1)
	v_rcp_f64_e32 v[50:51], v[46:47]
	v_nop
	v_fma_f64 v[52:53], -v[46:47], v[50:51], 1.0
	s_delay_alu instid0(VALU_DEP_1) | instskip(NEXT) | instid1(VALU_DEP_1)
	v_fmac_f64_e32 v[50:51], v[50:51], v[52:53]
	v_fma_f64 v[52:53], -v[46:47], v[50:51], 1.0
	s_delay_alu instid0(VALU_DEP_1) | instskip(SKIP_1) | instid1(VALU_DEP_1)
	v_fmac_f64_e32 v[50:51], v[50:51], v[52:53]
	v_div_scale_f64 v[52:53], vcc_lo, 1.0, v[44:45], 1.0
	v_mul_f64_e32 v[54:55], v[52:53], v[50:51]
	s_delay_alu instid0(VALU_DEP_1) | instskip(NEXT) | instid1(VALU_DEP_1)
	v_fma_f64 v[46:47], -v[46:47], v[54:55], v[52:53]
	v_div_fmas_f64 v[46:47], v[46:47], v[50:51], v[54:55]
	s_delay_alu instid0(VALU_DEP_1) | instskip(NEXT) | instid1(VALU_DEP_1)
	v_div_fixup_f64 v[52:53], v[46:47], v[44:45], 1.0
	v_mul_f64_e32 v[50:51], v[38:39], v[52:53]
.LBB8_66:                               ;   in Loop: Header=BB8_64 Depth=1
	s_delay_alu instid0(VALU_DEP_1) | instskip(NEXT) | instid1(VALU_DEP_2)
	v_mul_f64_e32 v[44:45], v[48:49], v[52:53]
	v_mul_f64_e32 v[38:39], v[34:35], v[50:51]
	;; [unrolled: 1-line block ×3, first 2 shown]
	v_mov_b64_e32 v[56:57], 1.0
	v_mov_b64_e32 v[58:59], 0
	v_mov_b64_e32 v[60:61], 1.0
	v_fma_f64 v[54:55], -v[32:33], v[50:51], v[44:45]
	v_fma_f64 v[48:49], v[30:31], v[52:53], -v[38:39]
	v_fma_f64 v[38:39], v[12:13], v[52:53], -v[46:47]
	s_delay_alu instid0(VALU_DEP_3) | instskip(NEXT) | instid1(VALU_DEP_3)
	v_mul_f64_e32 v[54:55], v[50:51], v[54:55]
	v_cmp_eq_f64_e32 vcc_lo, 0, v[48:49]
	s_delay_alu instid0(VALU_DEP_2)
	v_fma_f64 v[38:39], v[52:53], v[38:39], -v[54:55]
	v_mov_b64_e32 v[54:55], 0
	s_cbranch_vccnz .LBB8_68
; %bb.67:                               ;   in Loop: Header=BB8_64 Depth=1
	s_delay_alu instid0(VALU_DEP_2) | instskip(SKIP_1) | instid1(VALU_DEP_1)
	v_add_f64_e64 v[58:59], v[18:19], -v[38:39]
	v_add_f64_e32 v[60:61], v[48:49], v[48:49]
	v_div_scale_f64 v[62:63], null, v[60:61], v[60:61], v[58:59]
	v_div_scale_f64 v[68:69], vcc_lo, v[58:59], v[60:61], v[58:59]
	s_delay_alu instid0(VALU_DEP_2) | instskip(SKIP_1) | instid1(TRANS32_DEP_1)
	v_rcp_f64_e32 v[64:65], v[62:63]
	v_nop
	v_fma_f64 v[66:67], -v[62:63], v[64:65], 1.0
	s_delay_alu instid0(VALU_DEP_1) | instskip(NEXT) | instid1(VALU_DEP_1)
	v_fmac_f64_e32 v[64:65], v[64:65], v[66:67]
	v_fma_f64 v[66:67], -v[62:63], v[64:65], 1.0
	s_delay_alu instid0(VALU_DEP_1) | instskip(NEXT) | instid1(VALU_DEP_1)
	v_fmac_f64_e32 v[64:65], v[64:65], v[66:67]
	v_mul_f64_e32 v[66:67], v[68:69], v[64:65]
	s_delay_alu instid0(VALU_DEP_1) | instskip(NEXT) | instid1(VALU_DEP_1)
	v_fma_f64 v[62:63], -v[62:63], v[66:67], v[68:69]
	v_div_fmas_f64 v[62:63], v[62:63], v[64:65], v[66:67]
	s_delay_alu instid0(VALU_DEP_1) | instskip(NEXT) | instid1(VALU_DEP_1)
	v_div_fixup_f64 v[58:59], v[62:63], v[60:61], v[58:59]
	v_fma_f64 v[60:61], v[58:59], v[58:59], 1.0
	v_cmp_gt_f64_e32 vcc_lo, 0, v[58:59]
	s_delay_alu instid0(VALU_DEP_2) | instskip(SKIP_4) | instid1(SALU_CYCLE_1)
	v_cmp_gt_f64_e64 s0, 0x10000000, v[60:61]
	s_and_b32 s11, vcc_lo, exec_lo
	s_cselect_b32 s11, s1, 0x3ff00000
	s_and_b32 s0, s0, exec_lo
	s_cselect_b32 s0, 0x100, 0
	v_ldexp_f64 v[60:61], v[60:61], s0
	s_cselect_b32 s0, 0xffffff80, 0
	s_delay_alu instid0(VALU_DEP_1) | instskip(SKIP_1) | instid1(TRANS32_DEP_1)
	v_rsq_f64_e32 v[62:63], v[60:61]
	v_cmp_class_f64_e64 vcc_lo, v[60:61], 0x260
	v_mul_f64_e32 v[64:65], v[60:61], v[62:63]
	v_mul_f64_e32 v[62:63], 0.5, v[62:63]
	s_delay_alu instid0(VALU_DEP_1) | instskip(NEXT) | instid1(VALU_DEP_1)
	v_fma_f64 v[66:67], -v[62:63], v[64:65], 0.5
	v_fmac_f64_e32 v[64:65], v[64:65], v[66:67]
	v_fmac_f64_e32 v[62:63], v[62:63], v[66:67]
	s_delay_alu instid0(VALU_DEP_2) | instskip(NEXT) | instid1(VALU_DEP_1)
	v_fma_f64 v[66:67], -v[64:65], v[64:65], v[60:61]
	v_fmac_f64_e32 v[64:65], v[66:67], v[62:63]
	s_delay_alu instid0(VALU_DEP_1) | instskip(NEXT) | instid1(VALU_DEP_1)
	v_fma_f64 v[66:67], -v[64:65], v[64:65], v[60:61]
	v_fmac_f64_e32 v[64:65], v[66:67], v[62:63]
	s_delay_alu instid0(VALU_DEP_1) | instskip(NEXT) | instid1(VALU_DEP_1)
	v_ldexp_f64 v[62:63], v[64:65], s0
	v_dual_cndmask_b32 v61, v63, v61 :: v_dual_cndmask_b32 v60, v62, v60
	s_delay_alu instid0(VALU_DEP_1) | instskip(NEXT) | instid1(VALU_DEP_1)
	v_fmac_f64_e32 v[60:61], s[10:11], v[58:59]
	v_div_scale_f64 v[58:59], null, v[60:61], v[60:61], s[10:11]
	v_div_scale_f64 v[66:67], vcc_lo, s[10:11], v[60:61], s[10:11]
	s_delay_alu instid0(VALU_DEP_2) | instskip(SKIP_1) | instid1(TRANS32_DEP_1)
	v_rcp_f64_e32 v[62:63], v[58:59]
	v_nop
	v_fma_f64 v[64:65], -v[58:59], v[62:63], 1.0
	s_delay_alu instid0(VALU_DEP_1) | instskip(NEXT) | instid1(VALU_DEP_1)
	v_fmac_f64_e32 v[62:63], v[62:63], v[64:65]
	v_fma_f64 v[64:65], -v[58:59], v[62:63], 1.0
	s_delay_alu instid0(VALU_DEP_1) | instskip(NEXT) | instid1(VALU_DEP_1)
	v_fmac_f64_e32 v[62:63], v[62:63], v[64:65]
	v_mul_f64_e32 v[64:65], v[66:67], v[62:63]
	s_delay_alu instid0(VALU_DEP_1) | instskip(NEXT) | instid1(VALU_DEP_1)
	v_fma_f64 v[58:59], -v[58:59], v[64:65], v[66:67]
	v_div_fmas_f64 v[58:59], v[58:59], v[62:63], v[64:65]
	s_delay_alu instid0(VALU_DEP_1) | instskip(NEXT) | instid1(VALU_DEP_1)
	v_div_fixup_f64 v[58:59], v[58:59], v[60:61], s[10:11]
	v_fma_f64 v[60:61], v[58:59], v[58:59], 1.0
	s_delay_alu instid0(VALU_DEP_1) | instskip(SKIP_2) | instid1(SALU_CYCLE_1)
	v_cmp_gt_f64_e32 vcc_lo, 0x10000000, v[60:61]
	s_and_b32 s0, vcc_lo, exec_lo
	s_cselect_b32 s0, 0x100, 0
	v_ldexp_f64 v[60:61], v[60:61], s0
	s_cselect_b32 s0, 0xffffff80, 0
	s_delay_alu instid0(VALU_DEP_1) | instskip(SKIP_1) | instid1(TRANS32_DEP_1)
	v_rsq_f64_e32 v[62:63], v[60:61]
	v_cmp_class_f64_e64 vcc_lo, v[60:61], 0x260
	v_mul_f64_e32 v[64:65], v[60:61], v[62:63]
	v_mul_f64_e32 v[62:63], 0.5, v[62:63]
	s_delay_alu instid0(VALU_DEP_1) | instskip(NEXT) | instid1(VALU_DEP_1)
	v_fma_f64 v[66:67], -v[62:63], v[64:65], 0.5
	v_fmac_f64_e32 v[64:65], v[64:65], v[66:67]
	v_fmac_f64_e32 v[62:63], v[62:63], v[66:67]
	s_delay_alu instid0(VALU_DEP_2) | instskip(NEXT) | instid1(VALU_DEP_1)
	v_fma_f64 v[66:67], -v[64:65], v[64:65], v[60:61]
	v_fmac_f64_e32 v[64:65], v[66:67], v[62:63]
	s_delay_alu instid0(VALU_DEP_1) | instskip(NEXT) | instid1(VALU_DEP_1)
	v_fma_f64 v[66:67], -v[64:65], v[64:65], v[60:61]
	v_fmac_f64_e32 v[64:65], v[66:67], v[62:63]
	s_delay_alu instid0(VALU_DEP_1) | instskip(NEXT) | instid1(VALU_DEP_1)
	v_ldexp_f64 v[62:63], v[64:65], s0
	v_dual_cndmask_b32 v61, v63, v61 :: v_dual_cndmask_b32 v60, v62, v60
	s_delay_alu instid0(VALU_DEP_1) | instskip(NEXT) | instid1(VALU_DEP_1)
	v_div_scale_f64 v[62:63], null, v[60:61], v[60:61], 1.0
	v_rcp_f64_e32 v[64:65], v[62:63]
	v_nop
	s_delay_alu instid0(TRANS32_DEP_1) | instskip(NEXT) | instid1(VALU_DEP_1)
	v_fma_f64 v[66:67], -v[62:63], v[64:65], 1.0
	v_fmac_f64_e32 v[64:65], v[64:65], v[66:67]
	s_delay_alu instid0(VALU_DEP_1) | instskip(NEXT) | instid1(VALU_DEP_1)
	v_fma_f64 v[66:67], -v[62:63], v[64:65], 1.0
	v_fmac_f64_e32 v[64:65], v[64:65], v[66:67]
	v_div_scale_f64 v[66:67], vcc_lo, 1.0, v[60:61], 1.0
	s_delay_alu instid0(VALU_DEP_1) | instskip(NEXT) | instid1(VALU_DEP_1)
	v_mul_f64_e32 v[68:69], v[66:67], v[64:65]
	v_fma_f64 v[62:63], -v[62:63], v[68:69], v[66:67]
	s_delay_alu instid0(VALU_DEP_1) | instskip(NEXT) | instid1(VALU_DEP_1)
	v_div_fmas_f64 v[62:63], v[62:63], v[64:65], v[68:69]
	v_div_fixup_f64 v[60:61], v[62:63], v[60:61], 1.0
	s_delay_alu instid0(VALU_DEP_1)
	v_mul_f64_e32 v[58:59], v[58:59], v[60:61]
.LBB8_68:                               ;   in Loop: Header=BB8_64 Depth=1
	v_fmac_f64_e32 v[46:47], v[32:33], v[52:53]
	v_mul_f64_e32 v[62:63], v[34:35], v[52:53]
	v_fmac_f64_e32 v[44:45], v[12:13], v[50:51]
	s_delay_alu instid0(VALU_DEP_4)
	v_mul_f64_e32 v[64:65], v[48:49], v[58:59]
	v_mul_f64_e32 v[66:67], v[48:49], v[60:61]
	;; [unrolled: 1-line block ×3, first 2 shown]
	v_fmac_f64_e32 v[62:63], v[30:31], v[50:51]
	v_mul_f64_e32 v[34:35], v[52:53], v[46:47]
	v_fma_f64 v[30:31], v[18:19], v[60:61], v[64:65]
	v_fma_f64 v[46:47], v[38:39], v[58:59], v[66:67]
	v_fma_f64 v[12:13], v[52:53], v[44:45], -v[12:13]
	v_mul_f64_e32 v[32:33], v[62:63], v[60:61]
	v_fmac_f64_e32 v[34:35], v[50:51], v[44:45]
	v_mul_f64_e32 v[48:49], v[60:61], v[30:31]
	s_delay_alu instid0(VALU_DEP_3) | instskip(NEXT) | instid1(VALU_DEP_2)
	v_fmac_f64_e32 v[32:33], v[12:13], v[58:59]
	v_fmac_f64_e32 v[48:49], v[58:59], v[46:47]
	s_delay_alu instid0(VALU_DEP_2)
	v_cmp_eq_f64_e32 vcc_lo, 0, v[32:33]
	s_cbranch_vccnz .LBB8_70
; %bb.69:                               ;   in Loop: Header=BB8_64 Depth=1
	s_delay_alu instid0(VALU_DEP_2) | instskip(SKIP_1) | instid1(VALU_DEP_1)
	v_add_f64_e64 v[44:45], v[48:49], -v[34:35]
	v_add_f64_e32 v[54:55], v[32:33], v[32:33]
	v_div_scale_f64 v[56:57], null, v[54:55], v[54:55], v[44:45]
	v_div_scale_f64 v[72:73], vcc_lo, v[44:45], v[54:55], v[44:45]
	s_delay_alu instid0(VALU_DEP_2) | instskip(SKIP_1) | instid1(TRANS32_DEP_1)
	v_rcp_f64_e32 v[68:69], v[56:57]
	v_nop
	v_fma_f64 v[70:71], -v[56:57], v[68:69], 1.0
	s_delay_alu instid0(VALU_DEP_1) | instskip(NEXT) | instid1(VALU_DEP_1)
	v_fmac_f64_e32 v[68:69], v[68:69], v[70:71]
	v_fma_f64 v[70:71], -v[56:57], v[68:69], 1.0
	s_delay_alu instid0(VALU_DEP_1) | instskip(NEXT) | instid1(VALU_DEP_1)
	v_fmac_f64_e32 v[68:69], v[68:69], v[70:71]
	v_mul_f64_e32 v[70:71], v[72:73], v[68:69]
	s_delay_alu instid0(VALU_DEP_1) | instskip(NEXT) | instid1(VALU_DEP_1)
	v_fma_f64 v[56:57], -v[56:57], v[70:71], v[72:73]
	v_div_fmas_f64 v[56:57], v[56:57], v[68:69], v[70:71]
	s_delay_alu instid0(VALU_DEP_1) | instskip(NEXT) | instid1(VALU_DEP_1)
	v_div_fixup_f64 v[44:45], v[56:57], v[54:55], v[44:45]
	v_fma_f64 v[54:55], v[44:45], v[44:45], 1.0
	v_cmp_gt_f64_e32 vcc_lo, 0, v[44:45]
	s_delay_alu instid0(VALU_DEP_2) | instskip(SKIP_4) | instid1(SALU_CYCLE_1)
	v_cmp_gt_f64_e64 s0, 0x10000000, v[54:55]
	s_and_b32 s11, vcc_lo, exec_lo
	s_cselect_b32 s11, s1, 0x3ff00000
	s_and_b32 s0, s0, exec_lo
	s_cselect_b32 s0, 0x100, 0
	v_ldexp_f64 v[54:55], v[54:55], s0
	s_cselect_b32 s0, 0xffffff80, 0
	s_delay_alu instid0(VALU_DEP_1) | instskip(SKIP_1) | instid1(TRANS32_DEP_1)
	v_rsq_f64_e32 v[56:57], v[54:55]
	v_cmp_class_f64_e64 vcc_lo, v[54:55], 0x260
	v_mul_f64_e32 v[68:69], v[54:55], v[56:57]
	v_mul_f64_e32 v[56:57], 0.5, v[56:57]
	s_delay_alu instid0(VALU_DEP_1) | instskip(NEXT) | instid1(VALU_DEP_1)
	v_fma_f64 v[70:71], -v[56:57], v[68:69], 0.5
	v_fmac_f64_e32 v[68:69], v[68:69], v[70:71]
	v_fmac_f64_e32 v[56:57], v[56:57], v[70:71]
	s_delay_alu instid0(VALU_DEP_2) | instskip(NEXT) | instid1(VALU_DEP_1)
	v_fma_f64 v[70:71], -v[68:69], v[68:69], v[54:55]
	v_fmac_f64_e32 v[68:69], v[70:71], v[56:57]
	s_delay_alu instid0(VALU_DEP_1) | instskip(NEXT) | instid1(VALU_DEP_1)
	v_fma_f64 v[70:71], -v[68:69], v[68:69], v[54:55]
	v_fmac_f64_e32 v[68:69], v[70:71], v[56:57]
	s_delay_alu instid0(VALU_DEP_1) | instskip(NEXT) | instid1(VALU_DEP_1)
	v_ldexp_f64 v[56:57], v[68:69], s0
	v_dual_cndmask_b32 v55, v57, v55 :: v_dual_cndmask_b32 v54, v56, v54
	s_delay_alu instid0(VALU_DEP_1) | instskip(NEXT) | instid1(VALU_DEP_1)
	v_fmac_f64_e32 v[54:55], s[10:11], v[44:45]
	v_div_scale_f64 v[44:45], null, v[54:55], v[54:55], s[10:11]
	v_div_scale_f64 v[70:71], vcc_lo, s[10:11], v[54:55], s[10:11]
	s_delay_alu instid0(VALU_DEP_2) | instskip(SKIP_1) | instid1(TRANS32_DEP_1)
	v_rcp_f64_e32 v[56:57], v[44:45]
	v_nop
	v_fma_f64 v[68:69], -v[44:45], v[56:57], 1.0
	s_delay_alu instid0(VALU_DEP_1) | instskip(NEXT) | instid1(VALU_DEP_1)
	v_fmac_f64_e32 v[56:57], v[56:57], v[68:69]
	v_fma_f64 v[68:69], -v[44:45], v[56:57], 1.0
	s_delay_alu instid0(VALU_DEP_1) | instskip(NEXT) | instid1(VALU_DEP_1)
	v_fmac_f64_e32 v[56:57], v[56:57], v[68:69]
	v_mul_f64_e32 v[68:69], v[70:71], v[56:57]
	s_delay_alu instid0(VALU_DEP_1) | instskip(NEXT) | instid1(VALU_DEP_1)
	v_fma_f64 v[44:45], -v[44:45], v[68:69], v[70:71]
	v_div_fmas_f64 v[44:45], v[44:45], v[56:57], v[68:69]
	s_delay_alu instid0(VALU_DEP_1) | instskip(NEXT) | instid1(VALU_DEP_1)
	v_div_fixup_f64 v[44:45], v[44:45], v[54:55], s[10:11]
	v_fma_f64 v[54:55], v[44:45], v[44:45], 1.0
	s_delay_alu instid0(VALU_DEP_1) | instskip(SKIP_2) | instid1(SALU_CYCLE_1)
	v_cmp_gt_f64_e32 vcc_lo, 0x10000000, v[54:55]
	s_and_b32 s0, vcc_lo, exec_lo
	s_cselect_b32 s0, 0x100, 0
	v_ldexp_f64 v[54:55], v[54:55], s0
	s_cselect_b32 s0, 0xffffff80, 0
	s_delay_alu instid0(VALU_DEP_1) | instskip(SKIP_1) | instid1(TRANS32_DEP_1)
	v_rsq_f64_e32 v[56:57], v[54:55]
	v_cmp_class_f64_e64 vcc_lo, v[54:55], 0x260
	v_mul_f64_e32 v[68:69], v[54:55], v[56:57]
	v_mul_f64_e32 v[56:57], 0.5, v[56:57]
	s_delay_alu instid0(VALU_DEP_1) | instskip(NEXT) | instid1(VALU_DEP_1)
	v_fma_f64 v[70:71], -v[56:57], v[68:69], 0.5
	v_fmac_f64_e32 v[68:69], v[68:69], v[70:71]
	v_fmac_f64_e32 v[56:57], v[56:57], v[70:71]
	s_delay_alu instid0(VALU_DEP_2) | instskip(NEXT) | instid1(VALU_DEP_1)
	v_fma_f64 v[70:71], -v[68:69], v[68:69], v[54:55]
	v_fmac_f64_e32 v[68:69], v[70:71], v[56:57]
	s_delay_alu instid0(VALU_DEP_1) | instskip(NEXT) | instid1(VALU_DEP_1)
	v_fma_f64 v[70:71], -v[68:69], v[68:69], v[54:55]
	v_fmac_f64_e32 v[68:69], v[70:71], v[56:57]
	s_delay_alu instid0(VALU_DEP_1) | instskip(NEXT) | instid1(VALU_DEP_1)
	v_ldexp_f64 v[56:57], v[68:69], s0
	v_dual_cndmask_b32 v55, v57, v55 :: v_dual_cndmask_b32 v54, v56, v54
	s_delay_alu instid0(VALU_DEP_1) | instskip(NEXT) | instid1(VALU_DEP_1)
	v_div_scale_f64 v[56:57], null, v[54:55], v[54:55], 1.0
	v_rcp_f64_e32 v[68:69], v[56:57]
	v_nop
	s_delay_alu instid0(TRANS32_DEP_1) | instskip(NEXT) | instid1(VALU_DEP_1)
	v_fma_f64 v[70:71], -v[56:57], v[68:69], 1.0
	v_fmac_f64_e32 v[68:69], v[68:69], v[70:71]
	s_delay_alu instid0(VALU_DEP_1) | instskip(NEXT) | instid1(VALU_DEP_1)
	v_fma_f64 v[70:71], -v[56:57], v[68:69], 1.0
	v_fmac_f64_e32 v[68:69], v[68:69], v[70:71]
	v_div_scale_f64 v[70:71], vcc_lo, 1.0, v[54:55], 1.0
	s_delay_alu instid0(VALU_DEP_1) | instskip(NEXT) | instid1(VALU_DEP_1)
	v_mul_f64_e32 v[72:73], v[70:71], v[68:69]
	v_fma_f64 v[56:57], -v[56:57], v[72:73], v[70:71]
	s_delay_alu instid0(VALU_DEP_1) | instskip(NEXT) | instid1(VALU_DEP_1)
	v_div_fmas_f64 v[56:57], v[56:57], v[68:69], v[72:73]
	v_div_fixup_f64 v[56:57], v[56:57], v[54:55], 1.0
	s_delay_alu instid0(VALU_DEP_1)
	v_mul_f64_e32 v[54:55], v[44:45], v[56:57]
.LBB8_70:                               ;   in Loop: Header=BB8_64 Depth=1
	v_mul_f64_e32 v[44:45], v[28:29], v[50:51]
	v_mul_f64_e32 v[62:63], v[62:63], v[58:59]
	;; [unrolled: 1-line block ×4, first 2 shown]
	v_fma_f64 v[38:39], v[38:39], v[60:61], -v[64:65]
	s_add_co_i32 s0, s14, 1
	v_fma_f64 v[44:45], v[42:43], v[52:53], -v[44:45]
	v_fma_f64 v[62:63], v[12:13], v[60:61], -v[62:63]
	v_fma_f64 v[12:13], -v[18:19], v[58:59], v[66:67]
	v_mul_f64_e32 v[18:19], v[58:59], v[30:31]
	v_mul_f64_e32 v[30:31], v[22:23], v[58:59]
	v_fma_f64 v[68:69], v[40:41], v[52:53], -v[68:69]
	v_mul_f64_e32 v[22:23], v[22:23], v[60:61]
	v_fma_f64 v[70:71], v[36:37], v[52:53], -v[70:71]
	;; [unrolled: 2-line block ×3, first 2 shown]
	v_fma_f64 v[46:47], v[44:45], v[60:61], -v[30:31]
	v_mul_f64_e32 v[30:31], v[20:21], v[58:59]
	v_fmac_f64_e32 v[22:23], v[44:45], v[58:59]
	v_mul_f64_e32 v[20:21], v[20:21], v[60:61]
	v_fma_f64 v[12:13], v[60:61], v[38:39], -v[12:13]
	s_delay_alu instid0(VALU_DEP_4) | instskip(SKIP_3) | instid1(VALU_DEP_3)
	v_fma_f64 v[44:45], v[68:69], v[60:61], -v[30:31]
	v_mul_f64_e32 v[30:31], v[16:17], v[58:59]
	v_mul_f64_e32 v[16:17], v[16:17], v[60:61]
	v_fmac_f64_e32 v[20:21], v[68:69], v[58:59]
	v_fma_f64 v[38:39], v[70:71], v[60:61], -v[30:31]
	s_delay_alu instid0(VALU_DEP_3) | instskip(SKIP_4) | instid1(VALU_DEP_4)
	v_fmac_f64_e32 v[16:17], v[70:71], v[58:59]
	v_mul_f64_e32 v[58:59], v[28:29], v[52:53]
	v_mul_f64_e32 v[28:29], v[32:33], v[56:57]
	;; [unrolled: 1-line block ×4, first 2 shown]
	v_fmac_f64_e32 v[58:59], v[42:43], v[50:51]
	v_mul_f64_e32 v[42:43], v[26:27], v[52:53]
	s_delay_alu instid0(VALU_DEP_4) | instskip(NEXT) | instid1(VALU_DEP_2)
	v_fmac_f64_e32 v[30:31], v[62:63], v[54:55]
	v_fmac_f64_e32 v[42:43], v[40:41], v[50:51]
	v_mul_f64_e32 v[40:41], v[24:25], v[52:53]
	v_mul_f64_e32 v[24:25], v[32:33], v[54:55]
	s_delay_alu instid0(VALU_DEP_2) | instskip(SKIP_2) | instid1(VALU_DEP_4)
	v_fmac_f64_e32 v[40:41], v[36:37], v[50:51]
	v_fma_f64 v[36:37], v[34:35], v[54:55], v[28:29]
	v_fma_f64 v[28:29], -v[48:49], v[54:55], v[28:29]
	v_fma_f64 v[26:27], v[34:35], v[56:57], -v[24:25]
	v_fmac_f64_e32 v[24:25], v[48:49], v[56:57]
	v_fma_f64 v[48:49], v[62:63], v[56:57], -v[18:19]
	s_delay_alu instid0(VALU_DEP_4) | instskip(NEXT) | instid1(VALU_DEP_1)
	v_mul_f64_e32 v[18:19], v[54:55], v[28:29]
	v_fma_f64 v[32:33], v[56:57], v[26:27], -v[18:19]
	s_delay_alu instid0(VALU_DEP_4) | instskip(NEXT) | instid1(VALU_DEP_1)
	v_mul_f64_e32 v[18:19], v[54:55], v[24:25]
	v_fma_f64 v[34:35], v[56:57], v[36:37], -v[18:19]
	v_mul_f64_e32 v[18:19], v[56:57], v[24:25]
	v_mul_f64_e32 v[24:25], v[22:23], v[54:55]
	;; [unrolled: 1-line block ×3, first 2 shown]
	s_delay_alu instid0(VALU_DEP_3) | instskip(SKIP_1) | instid1(VALU_DEP_4)
	v_fmac_f64_e32 v[18:19], v[54:55], v[36:37]
	v_mul_f64_e32 v[36:37], v[48:49], v[48:49]
	v_fma_f64 v[28:29], v[58:59], v[56:57], -v[24:25]
	v_mul_f64_e32 v[24:25], v[20:21], v[54:55]
	v_mul_f64_e32 v[20:21], v[20:21], v[56:57]
	v_fmac_f64_e32 v[22:23], v[58:59], v[54:55]
	v_fmac_f64_e32 v[36:37], v[30:31], v[30:31]
	s_delay_alu instid0(VALU_DEP_4) | instskip(SKIP_4) | instid1(VALU_DEP_4)
	v_fma_f64 v[26:27], v[42:43], v[56:57], -v[24:25]
	v_mul_f64_e32 v[24:25], v[16:17], v[54:55]
	v_mul_f64_e32 v[16:17], v[16:17], v[56:57]
	v_fmac_f64_e32 v[20:21], v[42:43], v[54:55]
	v_fmac_f64_e32 v[36:37], v[34:35], v[34:35]
	v_fma_f64 v[24:25], v[40:41], v[56:57], -v[24:25]
	s_delay_alu instid0(VALU_DEP_4) | instskip(NEXT) | instid1(VALU_DEP_3)
	v_fmac_f64_e32 v[16:17], v[40:41], v[54:55]
	v_add_f64_e32 v[36:37], v[36:37], v[36:37]
	s_delay_alu instid0(VALU_DEP_1) | instskip(SKIP_2) | instid1(SALU_CYCLE_1)
	v_cmp_gt_f64_e32 vcc_lo, 0x10000000, v[36:37]
	s_and_b32 s11, vcc_lo, exec_lo
	s_cselect_b32 s11, 0x100, 0
	v_ldexp_f64 v[36:37], v[36:37], s11
	s_cselect_b32 s11, 0xffffff80, 0
	s_cmp_lt_u32 s14, 15
	s_delay_alu instid0(VALU_DEP_1) | instskip(SKIP_1) | instid1(TRANS32_DEP_1)
	v_rsq_f64_e32 v[40:41], v[36:37]
	v_cmp_class_f64_e64 vcc_lo, v[36:37], 0x260
	v_mul_f64_e32 v[42:43], v[36:37], v[40:41]
	v_mul_f64_e32 v[40:41], 0.5, v[40:41]
	s_delay_alu instid0(VALU_DEP_1) | instskip(NEXT) | instid1(VALU_DEP_1)
	v_fma_f64 v[50:51], -v[40:41], v[42:43], 0.5
	v_fmac_f64_e32 v[42:43], v[42:43], v[50:51]
	v_fmac_f64_e32 v[40:41], v[40:41], v[50:51]
	s_delay_alu instid0(VALU_DEP_2) | instskip(NEXT) | instid1(VALU_DEP_1)
	v_fma_f64 v[52:53], -v[42:43], v[42:43], v[36:37]
	v_fmac_f64_e32 v[42:43], v[52:53], v[40:41]
	s_delay_alu instid0(VALU_DEP_1) | instskip(NEXT) | instid1(VALU_DEP_1)
	v_fma_f64 v[50:51], -v[42:43], v[42:43], v[36:37]
	v_fmac_f64_e32 v[42:43], v[50:51], v[40:41]
	s_delay_alu instid0(VALU_DEP_1) | instskip(SKIP_1) | instid1(VALU_DEP_1)
	v_ldexp_f64 v[40:41], v[42:43], s11
	s_cselect_b32 s11, -1, 0
	v_dual_cndmask_b32 v37, v41, v37 :: v_dual_cndmask_b32 v36, v40, v36
	s_delay_alu instid0(VALU_DEP_1) | instskip(SKIP_1) | instid1(SALU_CYCLE_1)
	v_cmp_le_f64_e32 vcc_lo, s[8:9], v[36:37]
	s_and_b32 s11, vcc_lo, s11
	s_and_not1_b32 vcc_lo, exec_lo, s11
	s_cbranch_vccnz .LBB8_73
; %bb.71:                               ;   in Loop: Header=BB8_64 Depth=1
	v_mov_b64_e32 v[36:37], v[38:39]
	v_mov_b64_e32 v[40:41], v[44:45]
	;; [unrolled: 1-line block ×3, first 2 shown]
	s_mov_b32 s14, s0
	s_branch .LBB8_64
.LBB8_72:
	v_mov_b64_e32 v[38:39], 0
	v_mov_b64_e32 v[44:45], 0
	v_mov_b64_e32 v[46:47], 1.0
.LBB8_73:
	s_delay_alu instid0(VALU_DEP_4)
	v_cmp_lt_f64_e32 vcc_lo, v[12:13], v[32:33]
	s_cbranch_vccz .LBB8_75
; %bb.74:
	v_mov_b64_e32 v[34:35], v[32:33]
	v_mov_b64_e32 v[30:31], v[28:29]
	;; [unrolled: 1-line block ×4, first 2 shown]
	s_delay_alu instid0(VALU_DEP_4)
	v_cmp_nlt_f64_e32 vcc_lo, v[34:35], v[18:19]
	s_cbranch_vccz .LBB8_76
	s_branch .LBB8_77
.LBB8_75:
	v_mov_b64_e32 v[34:35], v[12:13]
	v_mov_b64_e32 v[12:13], v[32:33]
	s_delay_alu instid0(VALU_DEP_4)
	v_mov_b64_e32 v[30:31], v[46:47]
	v_mov_b64_e32 v[46:47], v[28:29]
	v_mov_b64_e32 v[28:29], v[44:45]
	v_mov_b64_e32 v[44:45], v[26:27]
	v_mov_b64_e32 v[26:27], v[38:39]
	v_mov_b64_e32 v[38:39], v[24:25]
	v_cmp_nlt_f64_e32 vcc_lo, v[34:35], v[18:19]
	s_cbranch_vccnz .LBB8_77
.LBB8_76:
	v_mov_b64_e32 v[24:25], v[34:35]
	s_delay_alu instid0(VALU_DEP_3)
	v_mov_b64_e32 v[32:33], v[26:27]
	v_mov_b64_e32 v[26:27], v[30:31]
	;; [unrolled: 1-line block ×11, first 2 shown]
.LBB8_77:
	v_cmp_nlt_f64_e32 vcc_lo, v[12:13], v[18:19]
	s_cbranch_vccnz .LBB8_79
; %bb.78:
	v_mov_b64_e32 v[32:33], v[18:19]
	v_mov_b64_e32 v[24:25], v[22:23]
	;; [unrolled: 1-line block ×4, first 2 shown]
	s_branch .LBB8_80
.LBB8_79:
	v_mov_b64_e32 v[32:33], v[12:13]
	v_mov_b64_e32 v[12:13], v[18:19]
	;; [unrolled: 1-line block ×8, first 2 shown]
.LBB8_80:
	v_div_scale_f64 v[16:17], null, v[34:35], v[34:35], 1.0
	v_div_scale_f64 v[20:21], null, v[32:33], v[32:33], 1.0
	;; [unrolled: 1-line block ×3, first 2 shown]
	v_div_scale_f64 v[60:61], s1, 1.0, v[12:13], 1.0
	s_mov_b64 s[8:9], 0x3d719799812dea11
	v_mov_b32_e32 v1, 0
	v_rcp_f64_e32 v[36:37], v[16:17]
	v_rcp_f64_e32 v[40:41], v[20:21]
	;; [unrolled: 1-line block ×3, first 2 shown]
	s_delay_alu instid0(TRANS32_DEP_3) | instskip(NEXT) | instid1(TRANS32_DEP_2)
	v_fma_f64 v[48:49], -v[16:17], v[36:37], 1.0
	v_fma_f64 v[50:51], -v[20:21], v[40:41], 1.0
	s_delay_alu instid0(VALU_DEP_2) | instskip(NEXT) | instid1(TRANS32_DEP_1)
	v_fmac_f64_e32 v[36:37], v[36:37], v[48:49]
	v_fma_f64 v[48:49], -v[42:43], v[52:53], 1.0
	s_delay_alu instid0(VALU_DEP_3) | instskip(NEXT) | instid1(VALU_DEP_3)
	v_fmac_f64_e32 v[40:41], v[40:41], v[50:51]
	v_fma_f64 v[50:51], -v[16:17], v[36:37], 1.0
	s_delay_alu instid0(VALU_DEP_3) | instskip(SKIP_1) | instid1(VALU_DEP_4)
	v_fmac_f64_e32 v[52:53], v[52:53], v[48:49]
	v_div_scale_f64 v[48:49], vcc_lo, 1.0, v[34:35], 1.0
	v_fma_f64 v[54:55], -v[20:21], v[40:41], 1.0
	s_delay_alu instid0(VALU_DEP_4) | instskip(SKIP_1) | instid1(VALU_DEP_3)
	v_fmac_f64_e32 v[36:37], v[36:37], v[50:51]
	v_div_scale_f64 v[50:51], s0, 1.0, v[32:33], 1.0
	v_fmac_f64_e32 v[40:41], v[40:41], v[54:55]
	v_fma_f64 v[54:55], -v[42:43], v[52:53], 1.0
	s_delay_alu instid0(VALU_DEP_4) | instskip(NEXT) | instid1(VALU_DEP_3)
	v_mul_f64_e32 v[56:57], v[48:49], v[36:37]
	v_mul_f64_e32 v[58:59], v[50:51], v[40:41]
	s_delay_alu instid0(VALU_DEP_3) | instskip(NEXT) | instid1(VALU_DEP_3)
	v_fmac_f64_e32 v[52:53], v[52:53], v[54:55]
	v_fma_f64 v[16:17], -v[16:17], v[56:57], v[48:49]
	s_delay_alu instid0(VALU_DEP_2) | instskip(NEXT) | instid1(VALU_DEP_2)
	v_mul_f64_e32 v[48:49], v[60:61], v[52:53]
	v_div_fmas_f64 v[16:17], v[16:17], v[36:37], v[56:57]
	s_mov_b32 vcc_lo, s0
	v_cmp_nlt_f64_e64 s0, |v[32:33]|, s[8:9]
	s_delay_alu instid0(VALU_DEP_3) | instskip(NEXT) | instid1(VALU_DEP_3)
	v_fma_f64 v[36:37], -v[42:43], v[48:49], v[60:61]
	v_div_fixup_f64 v[16:17], v[16:17], v[34:35], 1.0
	v_fma_f64 v[20:21], -v[20:21], v[58:59], v[50:51]
	s_delay_alu instid0(VALU_DEP_1) | instskip(SKIP_1) | instid1(VALU_DEP_1)
	v_div_fmas_f64 v[20:21], v[20:21], v[40:41], v[58:59]
	s_mov_b32 vcc_lo, s1
	v_div_fixup_f64 v[20:21], v[20:21], v[32:33], 1.0
	v_div_fmas_f64 v[32:33], v[36:37], v[52:53], v[48:49]
	v_cmp_nlt_f64_e64 vcc_lo, |v[34:35]|, s[8:9]
	s_delay_alu instid0(VALU_DEP_3) | instskip(NEXT) | instid1(VALU_DEP_3)
	v_dual_cndmask_b32 v21, 0, v21, s0 :: v_dual_cndmask_b32 v20, 0, v20, s0
	v_div_fixup_f64 v[32:33], v[32:33], v[12:13], 1.0
	v_cmp_nlt_f64_e64 s0, |v[12:13]|, s[8:9]
	v_cndmask_b32_e32 v13, 0, v17, vcc_lo
	s_delay_alu instid0(VALU_DEP_4) | instskip(SKIP_1) | instid1(VALU_DEP_4)
	v_mul_f64_e32 v[34:35], v[24:25], v[20:21]
	v_dual_mul_f64 v[40:41], v[20:21], v[22:23] :: v_dual_cndmask_b32 v12, 0, v16, vcc_lo
	v_dual_mul_f64 v[20:21], v[20:21], v[18:19] :: v_dual_cndmask_b32 v33, 0, v33, s0
	s_delay_alu instid0(VALU_DEP_3) | instskip(SKIP_1) | instid1(VALU_DEP_4)
	v_dual_mul_f64 v[24:25], v[24:25], v[34:35] :: v_dual_cndmask_b32 v32, 0, v32, s0
	v_mul_f64_e32 v[36:37], v[34:35], v[22:23]
	v_mul_f64_e32 v[16:17], v[30:31], v[12:13]
	s_delay_alu instid0(VALU_DEP_3)
	v_mul_f64_e32 v[48:49], v[46:47], v[32:33]
	v_mul_f64_e32 v[34:35], v[34:35], v[18:19]
	;; [unrolled: 1-line block ×8, first 2 shown]
	v_fmac_f64_e32 v[36:37], v[16:17], v[28:29]
	v_fmac_f64_e32 v[24:25], v[30:31], v[16:17]
	;; [unrolled: 1-line block ×3, first 2 shown]
	v_mul_f64_e32 v[30:31], v[32:33], v[38:39]
	v_fmac_f64_e32 v[50:51], v[42:43], v[26:27]
	v_fmac_f64_e32 v[22:23], v[28:29], v[42:43]
	;; [unrolled: 1-line block ×9, first 2 shown]
	v_mul_f64_e32 v[16:17], v[4:5], v[36:37]
	v_mul_f64_e32 v[18:19], v[8:9], v[34:35]
	;; [unrolled: 1-line block ×4, first 2 shown]
	s_delay_alu instid0(VALU_DEP_4)
	v_fmac_f64_e32 v[16:17], v[2:3], v[24:25]
	v_mul_f64_e32 v[2:3], v[10:11], v[34:35]
	v_fmac_f64_e32 v[18:19], v[6:7], v[36:37]
	v_mul_f64_e32 v[10:11], v[10:11], v[20:21]
	v_fmac_f64_e32 v[4:5], v[6:7], v[22:23]
	v_fmac_f64_e32 v[16:17], v[14:15], v[34:35]
	ds_store_b128 v1, v[16:19] offset:2144
	ds_store_b128 v1, v[2:5] offset:2160
	;; [unrolled: 1-line block ×3, first 2 shown]
.LBB8_81:
	s_or_b32 exec_lo, exec_lo, s13
	s_wait_dscnt 0x0
	s_barrier_signal -1
	s_barrier_wait -1
	s_and_saveexec_b32 s0, s2
	s_cbranch_execz .LBB8_83
; %bb.82:
	v_lshlrev_b32_e32 v1, 3, v0
	v_lshl_or_b32 v0, s3, 4, v0
	ds_load_b64 v[2:3], v1 offset:2096
	s_wait_dscnt 0x0
	global_store_b64 v0, v[2:3], s[6:7] scale_offset
.LBB8_83:
	s_wait_xcnt 0x0
	s_or_b32 exec_lo, exec_lo, s0
	s_and_not1_saveexec_b32 s0, s12
	s_cbranch_execz .LBB8_30
.LBB8_84:
	v_dual_mov_b32 v0, 1 :: v_dual_mov_b32 v1, s3
	global_store_b32 v1, v0, s[4:5] scale_offset
	s_sendmsg sendmsg(MSG_DEALLOC_VGPRS)
	s_endpgm
	.section	.rodata,"a",@progbits
	.p2align	6, 0x0
	.amdhsa_kernel _Z18prepare_svd_kernelILi256E10PayoffCallEviiT0_PKdPiPd
		.amdhsa_group_segment_fixed_size 2192
		.amdhsa_private_segment_fixed_size 0
		.amdhsa_kernarg_size 40
		.amdhsa_user_sgpr_count 2
		.amdhsa_user_sgpr_dispatch_ptr 0
		.amdhsa_user_sgpr_queue_ptr 0
		.amdhsa_user_sgpr_kernarg_segment_ptr 1
		.amdhsa_user_sgpr_dispatch_id 0
		.amdhsa_user_sgpr_kernarg_preload_length 0
		.amdhsa_user_sgpr_kernarg_preload_offset 0
		.amdhsa_user_sgpr_private_segment_size 0
		.amdhsa_wavefront_size32 1
		.amdhsa_uses_dynamic_stack 0
		.amdhsa_enable_private_segment 0
		.amdhsa_system_sgpr_workgroup_id_x 1
		.amdhsa_system_sgpr_workgroup_id_y 0
		.amdhsa_system_sgpr_workgroup_id_z 0
		.amdhsa_system_sgpr_workgroup_info 0
		.amdhsa_system_vgpr_workitem_id 0
		.amdhsa_next_free_vgpr 74
		.amdhsa_next_free_sgpr 21
		.amdhsa_named_barrier_count 0
		.amdhsa_reserve_vcc 1
		.amdhsa_float_round_mode_32 0
		.amdhsa_float_round_mode_16_64 0
		.amdhsa_float_denorm_mode_32 3
		.amdhsa_float_denorm_mode_16_64 3
		.amdhsa_fp16_overflow 0
		.amdhsa_memory_ordered 1
		.amdhsa_forward_progress 1
		.amdhsa_inst_pref_size 60
		.amdhsa_round_robin_scheduling 0
		.amdhsa_exception_fp_ieee_invalid_op 0
		.amdhsa_exception_fp_denorm_src 0
		.amdhsa_exception_fp_ieee_div_zero 0
		.amdhsa_exception_fp_ieee_overflow 0
		.amdhsa_exception_fp_ieee_underflow 0
		.amdhsa_exception_fp_ieee_inexact 0
		.amdhsa_exception_int_div_zero 0
	.end_amdhsa_kernel
	.section	.text._Z18prepare_svd_kernelILi256E10PayoffCallEviiT0_PKdPiPd,"axG",@progbits,_Z18prepare_svd_kernelILi256E10PayoffCallEviiT0_PKdPiPd,comdat
.Lfunc_end8:
	.size	_Z18prepare_svd_kernelILi256E10PayoffCallEviiT0_PKdPiPd, .Lfunc_end8-_Z18prepare_svd_kernelILi256E10PayoffCallEviiT0_PKdPiPd
                                        ; -- End function
	.set _Z18prepare_svd_kernelILi256E10PayoffCallEviiT0_PKdPiPd.num_vgpr, 74
	.set _Z18prepare_svd_kernelILi256E10PayoffCallEviiT0_PKdPiPd.num_agpr, 0
	.set _Z18prepare_svd_kernelILi256E10PayoffCallEviiT0_PKdPiPd.numbered_sgpr, 21
	.set _Z18prepare_svd_kernelILi256E10PayoffCallEviiT0_PKdPiPd.num_named_barrier, 0
	.set _Z18prepare_svd_kernelILi256E10PayoffCallEviiT0_PKdPiPd.private_seg_size, 0
	.set _Z18prepare_svd_kernelILi256E10PayoffCallEviiT0_PKdPiPd.uses_vcc, 1
	.set _Z18prepare_svd_kernelILi256E10PayoffCallEviiT0_PKdPiPd.uses_flat_scratch, 0
	.set _Z18prepare_svd_kernelILi256E10PayoffCallEviiT0_PKdPiPd.has_dyn_sized_stack, 0
	.set _Z18prepare_svd_kernelILi256E10PayoffCallEviiT0_PKdPiPd.has_recursion, 0
	.set _Z18prepare_svd_kernelILi256E10PayoffCallEviiT0_PKdPiPd.has_indirect_call, 0
	.section	.AMDGPU.csdata,"",@progbits
; Kernel info:
; codeLenInByte = 7624
; TotalNumSgprs: 23
; NumVgprs: 74
; ScratchSize: 0
; MemoryBound: 0
; FloatMode: 240
; IeeeMode: 1
; LDSByteSize: 2192 bytes/workgroup (compile time only)
; SGPRBlocks: 0
; VGPRBlocks: 4
; NumSGPRsForWavesPerEU: 23
; NumVGPRsForWavesPerEU: 74
; NamedBarCnt: 0
; Occupancy: 12
; WaveLimiterHint : 0
; COMPUTE_PGM_RSRC2:SCRATCH_EN: 0
; COMPUTE_PGM_RSRC2:USER_SGPR: 2
; COMPUTE_PGM_RSRC2:TRAP_HANDLER: 0
; COMPUTE_PGM_RSRC2:TGID_X_EN: 1
; COMPUTE_PGM_RSRC2:TGID_Y_EN: 0
; COMPUTE_PGM_RSRC2:TGID_Z_EN: 0
; COMPUTE_PGM_RSRC2:TIDIG_COMP_CNT: 0
	.section	.text._Z27compute_partial_beta_kernelILi128E10PayoffCallEviT0_PKdS3_S3_PKiPd,"axG",@progbits,_Z27compute_partial_beta_kernelILi128E10PayoffCallEviT0_PKdS3_S3_PKiPd,comdat
	.protected	_Z27compute_partial_beta_kernelILi128E10PayoffCallEviT0_PKdS3_S3_PKiPd ; -- Begin function _Z27compute_partial_beta_kernelILi128E10PayoffCallEviT0_PKdS3_S3_PKiPd
	.globl	_Z27compute_partial_beta_kernelILi128E10PayoffCallEviT0_PKdS3_S3_PKiPd
	.p2align	8
	.type	_Z27compute_partial_beta_kernelILi128E10PayoffCallEviT0_PKdS3_S3_PKiPd,@function
_Z27compute_partial_beta_kernelILi128E10PayoffCallEviT0_PKdS3_S3_PKiPd: ; @_Z27compute_partial_beta_kernelILi128E10PayoffCallEviT0_PKdS3_S3_PKiPd
; %bb.0:
	s_load_b64 s[2:3], s[0:1], 0x28
	s_wait_kmcnt 0x0
	s_load_b32 s2, s[2:3], 0x0
	s_wait_kmcnt 0x0
	s_cmp_lg_u32 s2, 0
	s_cbranch_scc0 .LBB9_2
.LBB9_1:
	s_endpgm
.LBB9_2:
	s_mov_b32 s2, exec_lo
	v_cmpx_gt_u32_e32 12, v0
	s_cbranch_execz .LBB9_4
; %bb.3:
	s_load_b64 s[4:5], s[0:1], 0x10
	v_lshlrev_b32_e32 v1, 3, v0
	s_wait_kmcnt 0x0
	global_load_b64 v[2:3], v0, s[4:5] scale_offset
	s_wait_loadcnt 0x0
	ds_store_b64 v1, v[2:3]
.LBB9_4:
	s_or_b32 exec_lo, exec_lo, s2
	s_clause 0x1
	s_load_b32 s13, s[0:1], 0x0
	s_load_b64 s[8:9], s[0:1], 0x30
	s_bfe_u32 s2, ttmp6, 0x4000c
	s_and_b32 s3, ttmp6, 15
	s_add_co_i32 s2, s2, 1
	s_getreg_b32 s4, hwreg(HW_REG_IB_STS2, 6, 4)
	s_mul_i32 s2, ttmp9, s2
	v_mov_b64_e32 v[18:19], 0
	s_add_co_i32 s3, s3, s2
	s_cmp_eq_u32 s4, 0
	v_mov_b64_e32 v[16:17], 0
	s_cselect_b32 s12, ttmp9, s3
	v_mov_b64_e32 v[2:3], 0
	v_lshl_or_b32 v14, s12, 7, v0
	s_mov_b32 s15, 0
	s_mov_b32 s14, exec_lo
	s_wait_dscnt 0x0
	s_barrier_signal -1
	s_barrier_wait -1
	s_wait_kmcnt 0x0
	v_cmpx_gt_i32_e64 s13, v14
	s_cbranch_execz .LBB9_10
; %bb.5:
	v_mov_b32_e32 v1, 0
	ds_load_b128 v[6:9], v1
	ds_load_b128 v[10:13], v1 offset:16
	ds_load_b128 v[16:19], v1 offset:32
	s_load_b32 s10, s[0:1], 0x38
	v_ashrrev_i32_e32 v15, 31, v14
	s_wait_dscnt 0x2
	v_div_scale_f64 v[20:21], null, v[6:7], v[6:7], 1.0
	s_wait_dscnt 0x0
	v_div_scale_f64 v[24:25], null, v[18:19], v[18:19], 1.0
	v_div_scale_f64 v[22:23], null, v[12:13], v[12:13], 1.0
	v_div_scale_f64 v[38:39], vcc_lo, 1.0, v[6:7], 1.0
	s_delay_alu instid0(VALU_DEP_4) | instskip(NEXT) | instid1(VALU_DEP_3)
	v_rcp_f64_e32 v[26:27], v[20:21]
	v_rcp_f64_e32 v[30:31], v[24:25]
	s_delay_alu instid0(VALU_DEP_2) | instskip(NEXT) | instid1(TRANS32_DEP_3)
	v_rcp_f64_e32 v[28:29], v[22:23]
	v_fma_f64 v[32:33], -v[20:21], v[26:27], 1.0
	s_delay_alu instid0(TRANS32_DEP_2) | instskip(NEXT) | instid1(TRANS32_DEP_1)
	v_fma_f64 v[36:37], -v[24:25], v[30:31], 1.0
	v_fma_f64 v[34:35], -v[22:23], v[28:29], 1.0
	s_delay_alu instid0(VALU_DEP_3) | instskip(NEXT) | instid1(VALU_DEP_3)
	v_fmac_f64_e32 v[26:27], v[26:27], v[32:33]
	v_fmac_f64_e32 v[30:31], v[30:31], v[36:37]
	s_delay_alu instid0(VALU_DEP_3) | instskip(NEXT) | instid1(VALU_DEP_3)
	v_fmac_f64_e32 v[28:29], v[28:29], v[34:35]
	v_fma_f64 v[32:33], -v[20:21], v[26:27], 1.0
	s_delay_alu instid0(VALU_DEP_3) | instskip(NEXT) | instid1(VALU_DEP_3)
	v_fma_f64 v[36:37], -v[24:25], v[30:31], 1.0
	v_fma_f64 v[34:35], -v[22:23], v[28:29], 1.0
	s_delay_alu instid0(VALU_DEP_3) | instskip(SKIP_1) | instid1(VALU_DEP_4)
	v_fmac_f64_e32 v[26:27], v[26:27], v[32:33]
	v_div_scale_f64 v[32:33], s2, 1.0, v[12:13], 1.0
	v_fmac_f64_e32 v[30:31], v[30:31], v[36:37]
	s_delay_alu instid0(VALU_DEP_4) | instskip(SKIP_4) | instid1(VALU_DEP_1)
	v_fmac_f64_e32 v[28:29], v[28:29], v[34:35]
	v_div_scale_f64 v[34:35], s3, 1.0, v[18:19], 1.0
	v_mul_f64_e32 v[36:37], v[38:39], v[26:27]
	ds_load_b128 v[2:5], v1 offset:48
	v_fma_f64 v[20:21], -v[20:21], v[36:37], v[38:39]
	v_div_fmas_f64 v[20:21], v[20:21], v[26:27], v[36:37]
	s_mov_b32 vcc_lo, s2
	v_cmp_neq_f64_e64 s2, 0, v[12:13]
	v_mul_f64_e32 v[40:41], v[32:33], v[28:29]
	s_delay_alu instid0(VALU_DEP_3) | instskip(SKIP_1) | instid1(VALU_DEP_3)
	v_div_fixup_f64 v[20:21], v[20:21], v[6:7], 1.0
	v_mul_f64_e32 v[42:43], v[34:35], v[30:31]
	v_fma_f64 v[22:23], -v[22:23], v[40:41], v[32:33]
	v_lshlrev_b64_e32 v[32:33], 3, v[14:15]
	s_delay_alu instid0(VALU_DEP_3) | instskip(NEXT) | instid1(VALU_DEP_3)
	v_fma_f64 v[24:25], -v[24:25], v[42:43], v[34:35]
	v_div_fmas_f64 v[22:23], v[22:23], v[28:29], v[40:41]
	s_mov_b32 vcc_lo, s3
	v_cmp_neq_f64_e64 s3, 0, v[18:19]
	s_delay_alu instid0(VALU_DEP_3) | instskip(SKIP_1) | instid1(VALU_DEP_4)
	v_div_fmas_f64 v[24:25], v[24:25], v[30:31], v[42:43]
	v_cmp_neq_f64_e32 vcc_lo, 0, v[6:7]
	v_div_fixup_f64 v[6:7], v[22:23], v[12:13], 1.0
	s_delay_alu instid0(VALU_DEP_3) | instskip(SKIP_1) | instid1(VALU_DEP_3)
	v_div_fixup_f64 v[12:13], v[24:25], v[18:19], 1.0
	v_dual_cndmask_b32 v19, 0, v21 :: v_dual_cndmask_b32 v18, 0, v20
	v_dual_cndmask_b32 v21, 0, v7, s2 :: v_dual_cndmask_b32 v20, 0, v6, s2
	s_wait_dscnt 0x0
	s_delay_alu instid0(VALU_DEP_2) | instskip(SKIP_1) | instid1(VALU_DEP_3)
	v_mul_f64_e32 v[30:31], v[18:19], v[2:3]
	v_mov_b64_e32 v[2:3], 0
	v_mul_f64_e32 v[6:7], v[18:19], v[20:21]
	v_dual_cndmask_b32 v23, 0, v13, s3 :: v_dual_cndmask_b32 v22, 0, v12, s3
	s_delay_alu instid0(VALU_DEP_1)
	v_mul_f64_e32 v[12:13], v[18:19], v[22:23]
	v_mul_f64_e32 v[24:25], v[16:17], v[22:23]
	v_mov_b64_e32 v[18:19], 0
	v_mul_f64_e32 v[26:27], v[8:9], v[6:7]
	v_mov_b64_e32 v[16:17], 0
	v_mul_f64_e32 v[28:29], v[10:11], v[12:13]
	ds_load_b128 v[6:9], v1 offset:64
	ds_load_b128 v[10:13], v1 offset:80
	s_clause 0x1
	s_load_b128 s[4:7], s[0:1], 0x18
	s_load_b64 s[2:3], s[0:1], 0x8
	s_wait_kmcnt 0x0
	s_lshl_b32 s0, s10, 7
	s_delay_alu instid0(SALU_CYCLE_1) | instskip(NEXT) | instid1(SALU_CYCLE_1)
	s_ashr_i32 s1, s0, 31
	s_lshl_b64 s[10:11], s[0:1], 3
	s_branch .LBB9_7
.LBB9_6:                                ;   in Loop: Header=BB9_7 Depth=1
	s_wait_xcnt 0x0
	s_or_b32 exec_lo, exec_lo, s1
	v_dual_mul_f64 v[38:39], v[22:23], v[36:37] :: v_dual_add_nc_u32 v14, s0, v14
	v_fma_f64 v[40:41], v[20:21], v[36:37], -v[26:27]
	v_add_nc_u64_e32 v[32:33], s[10:11], v[32:33]
	s_delay_alu instid0(VALU_DEP_3) | instskip(SKIP_1) | instid1(VALU_DEP_4)
	v_cmp_le_i32_e32 vcc_lo, s13, v14
	s_or_b32 s15, vcc_lo, s15
	v_fma_f64 v[36:37], v[36:37], v[38:39], -v[28:29]
	s_delay_alu instid0(VALU_DEP_4) | instskip(NEXT) | instid1(VALU_DEP_2)
	v_fma_f64 v[38:39], v[4:5], v[40:41], v[30:31]
	v_fma_f64 v[36:37], -v[24:25], v[40:41], v[36:37]
	s_wait_dscnt 0x0
	s_delay_alu instid0(VALU_DEP_1) | instskip(NEXT) | instid1(VALU_DEP_3)
	v_mul_f64_e32 v[42:43], v[10:11], v[36:37]
	v_fmac_f64_e32 v[38:39], v[6:7], v[36:37]
	v_mul_f64_e32 v[36:37], v[12:13], v[36:37]
	s_delay_alu instid0(VALU_DEP_3) | instskip(SKIP_1) | instid1(VALU_DEP_3)
	v_fmac_f64_e32 v[42:43], v[8:9], v[40:41]
	s_wait_loadcnt 0x0
	v_fmac_f64_e32 v[18:19], v[38:39], v[34:35]
	s_delay_alu instid0(VALU_DEP_3) | instskip(NEXT) | instid1(VALU_DEP_3)
	v_fmac_f64_e32 v[2:3], v[36:37], v[34:35]
	v_fmac_f64_e32 v[16:17], v[42:43], v[34:35]
	s_and_not1_b32 exec_lo, exec_lo, s15
	s_cbranch_execz .LBB9_9
.LBB9_7:                                ; =>This Inner Loop Header: Depth=1
	v_add_nc_u64_e32 v[34:35], s[4:5], v[32:33]
	s_mov_b32 s1, exec_lo
	global_load_b64 v[36:37], v[34:35], off
	s_wait_xcnt 0x0
	v_mov_b64_e32 v[34:35], 0
	s_wait_loadcnt 0x0
	v_cmpx_lt_f64_e32 s[2:3], v[36:37]
	s_cbranch_execz .LBB9_6
; %bb.8:                                ;   in Loop: Header=BB9_7 Depth=1
	v_add_nc_u64_e32 v[34:35], s[6:7], v[32:33]
	global_load_b64 v[34:35], v[34:35], off
	s_branch .LBB9_6
.LBB9_9:
	s_or_b32 exec_lo, exec_lo, s15
.LBB9_10:
	s_delay_alu instid0(SALU_CYCLE_1)
	s_or_b32 exec_lo, exec_lo, s14
	v_cmp_eq_u32_e32 vcc_lo, 0, v0
	s_and_saveexec_b32 s0, vcc_lo
	s_cbranch_execz .LBB9_12
; %bb.11:
	v_mov_b32_e32 v4, 0
	v_mov_b64_e32 v[0:1], 0
	s_delay_alu instid0(VALU_DEP_2)
	v_dual_mov_b32 v5, v4 :: v_dual_mov_b32 v6, v4
	v_mov_b32_e32 v7, v4
	ds_store_b128 v4, v[4:7] offset:96
	ds_store_b64 v4, v[0:1] offset:112
.LBB9_12:
	s_or_b32 exec_lo, exec_lo, s0
	v_mov_b64_e32 v[0:1], 0x8000000000000000
	s_mov_b32 s0, exec_lo
	s_wait_dscnt 0x0
	s_barrier_signal -1
	s_barrier_wait -1
.LBB9_13:                               ; =>This Inner Loop Header: Depth=1
	s_ctz_i32_b32 s1, s0
	s_delay_alu instid0(SALU_CYCLE_1) | instskip(SKIP_2) | instid1(SALU_CYCLE_1)
	v_readlane_b32 s3, v19, s1
	v_readlane_b32 s2, v18, s1
	s_lshl_b32 s1, 1, s1
	s_and_not1_b32 s0, s0, s1
	v_add_f64_e32 v[0:1], s[2:3], v[0:1]
	s_cmp_lg_u32 s0, 0
	s_cbranch_scc1 .LBB9_13
; %bb.14:
	v_mbcnt_lo_u32_b32 v4, exec_lo, 0
	s_delay_alu instid0(VALU_DEP_1) | instskip(SKIP_1) | instid1(SALU_CYCLE_1)
	v_cmp_eq_u32_e64 s0, 0, v4
	s_and_saveexec_b32 s1, s0
	s_xor_b32 s0, exec_lo, s1
; %bb.15:
	v_mov_b32_e32 v4, 0
	ds_add_f64 v4, v[0:1] offset:96
; %bb.16:
	s_or_b32 exec_lo, exec_lo, s0
	v_mov_b64_e32 v[0:1], 0x8000000000000000
	s_mov_b32 s0, exec_lo
.LBB9_17:                               ; =>This Inner Loop Header: Depth=1
	s_delay_alu instid0(SALU_CYCLE_1) | instskip(NEXT) | instid1(SALU_CYCLE_1)
	s_ctz_i32_b32 s1, s0
	v_readlane_b32 s3, v17, s1
	v_readlane_b32 s2, v16, s1
	s_lshl_b32 s1, 1, s1
	s_delay_alu instid0(SALU_CYCLE_1)
	s_and_not1_b32 s0, s0, s1
	v_add_f64_e32 v[0:1], s[2:3], v[0:1]
	s_cmp_lg_u32 s0, 0
	s_cbranch_scc1 .LBB9_17
; %bb.18:
	v_mbcnt_lo_u32_b32 v4, exec_lo, 0
	s_delay_alu instid0(VALU_DEP_1) | instskip(SKIP_1) | instid1(SALU_CYCLE_1)
	v_cmp_eq_u32_e64 s0, 0, v4
	s_and_saveexec_b32 s1, s0
	s_xor_b32 s0, exec_lo, s1
; %bb.19:
	v_mov_b32_e32 v4, 0
	ds_add_f64 v4, v[0:1] offset:104
; %bb.20:
	s_or_b32 exec_lo, exec_lo, s0
	v_mov_b64_e32 v[0:1], 0x8000000000000000
	s_mov_b32 s0, exec_lo
.LBB9_21:                               ; =>This Inner Loop Header: Depth=1
	s_delay_alu instid0(SALU_CYCLE_1) | instskip(NEXT) | instid1(SALU_CYCLE_1)
	s_ctz_i32_b32 s1, s0
	v_readlane_b32 s3, v3, s1
	v_readlane_b32 s2, v2, s1
	s_lshl_b32 s1, 1, s1
	s_delay_alu instid0(SALU_CYCLE_1)
	s_and_not1_b32 s0, s0, s1
	v_add_f64_e32 v[0:1], s[2:3], v[0:1]
	s_cmp_lg_u32 s0, 0
	s_cbranch_scc1 .LBB9_21
; %bb.22:
	v_mbcnt_lo_u32_b32 v2, exec_lo, 0
	s_delay_alu instid0(VALU_DEP_1) | instskip(SKIP_1) | instid1(SALU_CYCLE_1)
	v_cmp_eq_u32_e64 s0, 0, v2
	s_and_saveexec_b32 s1, s0
	s_xor_b32 s0, exec_lo, s1
; %bb.23:
	v_mov_b32_e32 v2, 0
	ds_add_f64 v2, v[0:1] offset:112
; %bb.24:
	s_or_b32 exec_lo, exec_lo, s0
	s_wait_dscnt 0x0
	s_barrier_signal -1
	s_barrier_wait -1
	s_and_saveexec_b32 s0, vcc_lo
	s_cbranch_execz .LBB9_1
; %bb.25:
	v_dual_mov_b32 v4, 0 :: v_dual_mov_b32 v6, s12
	s_add_co_i32 s0, s12, 0x80
	s_add_co_i32 s1, s12, 0x100
	s_delay_alu instid0(SALU_CYCLE_1)
	v_dual_mov_b32 v7, s0 :: v_dual_mov_b32 v8, s1
	ds_load_b128 v[0:3], v4 offset:96
	ds_load_b64 v[4:5], v4 offset:112
	s_wait_dscnt 0x1
	s_clause 0x1
	global_store_b64 v6, v[0:1], s[8:9] scale_offset
	global_store_b64 v7, v[2:3], s[8:9] scale_offset
	s_wait_dscnt 0x0
	global_store_b64 v8, v[4:5], s[8:9] scale_offset
	s_endpgm
	.section	.rodata,"a",@progbits
	.p2align	6, 0x0
	.amdhsa_kernel _Z27compute_partial_beta_kernelILi128E10PayoffCallEviT0_PKdS3_S3_PKiPd
		.amdhsa_group_segment_fixed_size 120
		.amdhsa_private_segment_fixed_size 0
		.amdhsa_kernarg_size 312
		.amdhsa_user_sgpr_count 2
		.amdhsa_user_sgpr_dispatch_ptr 0
		.amdhsa_user_sgpr_queue_ptr 0
		.amdhsa_user_sgpr_kernarg_segment_ptr 1
		.amdhsa_user_sgpr_dispatch_id 0
		.amdhsa_user_sgpr_kernarg_preload_length 0
		.amdhsa_user_sgpr_kernarg_preload_offset 0
		.amdhsa_user_sgpr_private_segment_size 0
		.amdhsa_wavefront_size32 1
		.amdhsa_uses_dynamic_stack 0
		.amdhsa_enable_private_segment 0
		.amdhsa_system_sgpr_workgroup_id_x 1
		.amdhsa_system_sgpr_workgroup_id_y 0
		.amdhsa_system_sgpr_workgroup_id_z 0
		.amdhsa_system_sgpr_workgroup_info 0
		.amdhsa_system_vgpr_workitem_id 0
		.amdhsa_next_free_vgpr 44
		.amdhsa_next_free_sgpr 16
		.amdhsa_named_barrier_count 0
		.amdhsa_reserve_vcc 1
		.amdhsa_float_round_mode_32 0
		.amdhsa_float_round_mode_16_64 0
		.amdhsa_float_denorm_mode_32 3
		.amdhsa_float_denorm_mode_16_64 3
		.amdhsa_fp16_overflow 0
		.amdhsa_memory_ordered 1
		.amdhsa_forward_progress 1
		.amdhsa_inst_pref_size 12
		.amdhsa_round_robin_scheduling 0
		.amdhsa_exception_fp_ieee_invalid_op 0
		.amdhsa_exception_fp_denorm_src 0
		.amdhsa_exception_fp_ieee_div_zero 0
		.amdhsa_exception_fp_ieee_overflow 0
		.amdhsa_exception_fp_ieee_underflow 0
		.amdhsa_exception_fp_ieee_inexact 0
		.amdhsa_exception_int_div_zero 0
	.end_amdhsa_kernel
	.section	.text._Z27compute_partial_beta_kernelILi128E10PayoffCallEviT0_PKdS3_S3_PKiPd,"axG",@progbits,_Z27compute_partial_beta_kernelILi128E10PayoffCallEviT0_PKdS3_S3_PKiPd,comdat
.Lfunc_end9:
	.size	_Z27compute_partial_beta_kernelILi128E10PayoffCallEviT0_PKdS3_S3_PKiPd, .Lfunc_end9-_Z27compute_partial_beta_kernelILi128E10PayoffCallEviT0_PKdS3_S3_PKiPd
                                        ; -- End function
	.set _Z27compute_partial_beta_kernelILi128E10PayoffCallEviT0_PKdS3_S3_PKiPd.num_vgpr, 44
	.set _Z27compute_partial_beta_kernelILi128E10PayoffCallEviT0_PKdS3_S3_PKiPd.num_agpr, 0
	.set _Z27compute_partial_beta_kernelILi128E10PayoffCallEviT0_PKdS3_S3_PKiPd.numbered_sgpr, 16
	.set _Z27compute_partial_beta_kernelILi128E10PayoffCallEviT0_PKdS3_S3_PKiPd.num_named_barrier, 0
	.set _Z27compute_partial_beta_kernelILi128E10PayoffCallEviT0_PKdS3_S3_PKiPd.private_seg_size, 0
	.set _Z27compute_partial_beta_kernelILi128E10PayoffCallEviT0_PKdS3_S3_PKiPd.uses_vcc, 1
	.set _Z27compute_partial_beta_kernelILi128E10PayoffCallEviT0_PKdS3_S3_PKiPd.uses_flat_scratch, 0
	.set _Z27compute_partial_beta_kernelILi128E10PayoffCallEviT0_PKdS3_S3_PKiPd.has_dyn_sized_stack, 0
	.set _Z27compute_partial_beta_kernelILi128E10PayoffCallEviT0_PKdS3_S3_PKiPd.has_recursion, 0
	.set _Z27compute_partial_beta_kernelILi128E10PayoffCallEviT0_PKdS3_S3_PKiPd.has_indirect_call, 0
	.section	.AMDGPU.csdata,"",@progbits
; Kernel info:
; codeLenInByte = 1412
; TotalNumSgprs: 18
; NumVgprs: 44
; ScratchSize: 0
; MemoryBound: 0
; FloatMode: 240
; IeeeMode: 1
; LDSByteSize: 120 bytes/workgroup (compile time only)
; SGPRBlocks: 0
; VGPRBlocks: 2
; NumSGPRsForWavesPerEU: 18
; NumVGPRsForWavesPerEU: 44
; NamedBarCnt: 0
; Occupancy: 16
; WaveLimiterHint : 0
; COMPUTE_PGM_RSRC2:SCRATCH_EN: 0
; COMPUTE_PGM_RSRC2:USER_SGPR: 2
; COMPUTE_PGM_RSRC2:TRAP_HANDLER: 0
; COMPUTE_PGM_RSRC2:TGID_X_EN: 1
; COMPUTE_PGM_RSRC2:TGID_Y_EN: 0
; COMPUTE_PGM_RSRC2:TGID_Z_EN: 0
; COMPUTE_PGM_RSRC2:TIDIG_COMP_CNT: 0
	.section	.text._Z22update_cashflow_kernelILi128E10PayoffCallEviT0_dPKdS3_PKiPd,"axG",@progbits,_Z22update_cashflow_kernelILi128E10PayoffCallEviT0_dPKdS3_PKiPd,comdat
	.protected	_Z22update_cashflow_kernelILi128E10PayoffCallEviT0_dPKdS3_PKiPd ; -- Begin function _Z22update_cashflow_kernelILi128E10PayoffCallEviT0_dPKdS3_PKiPd
	.globl	_Z22update_cashflow_kernelILi128E10PayoffCallEviT0_dPKdS3_PKiPd
	.p2align	8
	.type	_Z22update_cashflow_kernelILi128E10PayoffCallEviT0_dPKdS3_PKiPd,@function
_Z22update_cashflow_kernelILi128E10PayoffCallEviT0_dPKdS3_PKiPd: ; @_Z22update_cashflow_kernelILi128E10PayoffCallEviT0_dPKdS3_PKiPd
; %bb.0:
	s_load_b32 s20, s[0:1], 0x0
	s_bfe_u32 s2, ttmp6, 0x4000c
	s_and_b32 s3, ttmp6, 15
	s_add_co_i32 s2, s2, 1
	s_getreg_b32 s4, hwreg(HW_REG_IB_STS2, 6, 4)
	s_mul_i32 s2, ttmp9, s2
	s_mov_b32 s21, 0
	s_add_co_i32 s3, s3, s2
	s_cmp_eq_u32 s4, 0
	s_cselect_b32 s2, ttmp9, s3
	s_delay_alu instid0(SALU_CYCLE_1) | instskip(SKIP_2) | instid1(VALU_DEP_1)
	v_lshl_or_b32 v0, s2, 7, v0
	s_mov_b32 s2, exec_lo
	s_wait_kmcnt 0x0
	v_cmpx_gt_i32_e64 s20, v0
	s_cbranch_execz .LBB10_9
; %bb.1:
	s_clause 0x2
	s_load_b128 s[12:15], s[0:1], 0x28
	s_load_b256 s[4:11], s[0:1], 0x8
	s_load_b32 s18, s[0:1], 0x38
	v_ashrrev_i32_e32 v1, 31, v0
	s_wait_kmcnt 0x0
	s_load_b32 s19, s[12:13], 0x0
	s_clause 0x1
	s_load_b128 s[0:3], s[8:9], 0x0
	s_load_b64 s[16:17], s[8:9], 0x10
	s_wait_xcnt 0x0
	s_lshl_b32 s12, s18, 7
	v_lshlrev_b64_e32 v[2:3], 3, v[0:1]
	s_mov_b64 s[8:9], 0x3e45798ee2308c3a
	s_wait_kmcnt 0x0
	s_cmp_eq_u32 s19, 0
	s_cselect_b32 s22, -1, 0
	s_ashr_i32 s13, s12, 31
	s_delay_alu instid0(SALU_CYCLE_1)
	s_lshl_b64 s[18:19], s[12:13], 3
	s_branch .LBB10_4
.LBB10_2:                               ;   in Loop: Header=BB10_4 Depth=1
	s_or_b32 exec_lo, exec_lo, s23
	s_delay_alu instid0(VALU_DEP_1)
	v_mov_b64_e32 v[6:7], v[8:9]
.LBB10_3:                               ;   in Loop: Header=BB10_4 Depth=1
	v_add_nc_u32_e32 v0, s12, v0
	v_add_nc_u64_e32 v[2:3], s[18:19], v[2:3]
	global_store_b64 v[4:5], v[6:7], off
	v_cmp_le_i32_e32 vcc_lo, s20, v0
	s_or_b32 s21, vcc_lo, s21
	s_wait_xcnt 0x0
	s_and_not1_b32 exec_lo, exec_lo, s21
	s_cbranch_execz .LBB10_9
.LBB10_4:                               ; =>This Inner Loop Header: Depth=1
	v_add_nc_u64_e32 v[4:5], s[14:15], v[2:3]
	s_and_not1_b32 vcc_lo, exec_lo, s22
	global_load_b64 v[6:7], v[4:5], off
	s_wait_loadcnt 0x0
	v_mul_f64_e32 v[6:7], s[6:7], v[6:7]
	s_cbranch_vccnz .LBB10_3
; %bb.5:                                ;   in Loop: Header=BB10_4 Depth=1
	v_add_nc_u64_e32 v[8:9], s[10:11], v[2:3]
	s_mov_b32 s23, exec_lo
	global_load_b64 v[10:11], v[8:9], off
	s_wait_loadcnt 0x0
	s_wait_xcnt 0x0
	v_add_f64_e64 v[8:9], v[10:11], -s[4:5]
	s_delay_alu instid0(VALU_DEP_1) | instskip(NEXT) | instid1(VALU_DEP_1)
	v_max_num_f64_e32 v[8:9], 0, v[8:9]
	v_cmp_ge_f64_e64 s13, s[8:9], v[8:9]
	v_cmpx_nge_f64_e32 s[8:9], v[8:9]
	s_cbranch_execz .LBB10_7
; %bb.6:                                ;   in Loop: Header=BB10_4 Depth=1
	v_fma_f64 v[12:13], s[2:3], v[10:11], s[0:1]
	v_mul_f64_e32 v[10:11], v[10:11], v[10:11]
	s_and_not1_b32 s13, s13, exec_lo
	s_delay_alu instid0(VALU_DEP_1) | instskip(NEXT) | instid1(VALU_DEP_1)
	v_fmac_f64_e32 v[12:13], s[16:17], v[10:11]
	v_mul_f64_e32 v[10:11], s[6:7], v[12:13]
	s_delay_alu instid0(VALU_DEP_1) | instskip(SKIP_1) | instid1(SALU_CYCLE_1)
	v_cmp_le_f64_e32 vcc_lo, v[8:9], v[10:11]
	s_and_b32 s24, vcc_lo, exec_lo
	s_or_b32 s13, s13, s24
.LBB10_7:                               ;   in Loop: Header=BB10_4 Depth=1
	s_or_b32 exec_lo, exec_lo, s23
	s_and_saveexec_b32 s23, s13
	s_cbranch_execz .LBB10_2
; %bb.8:                                ;   in Loop: Header=BB10_4 Depth=1
	v_mov_b64_e32 v[8:9], v[6:7]
	s_branch .LBB10_2
.LBB10_9:
	s_endpgm
	.section	.rodata,"a",@progbits
	.p2align	6, 0x0
	.amdhsa_kernel _Z22update_cashflow_kernelILi128E10PayoffCallEviT0_dPKdS3_PKiPd
		.amdhsa_group_segment_fixed_size 0
		.amdhsa_private_segment_fixed_size 0
		.amdhsa_kernarg_size 312
		.amdhsa_user_sgpr_count 2
		.amdhsa_user_sgpr_dispatch_ptr 0
		.amdhsa_user_sgpr_queue_ptr 0
		.amdhsa_user_sgpr_kernarg_segment_ptr 1
		.amdhsa_user_sgpr_dispatch_id 0
		.amdhsa_user_sgpr_kernarg_preload_length 0
		.amdhsa_user_sgpr_kernarg_preload_offset 0
		.amdhsa_user_sgpr_private_segment_size 0
		.amdhsa_wavefront_size32 1
		.amdhsa_uses_dynamic_stack 0
		.amdhsa_enable_private_segment 0
		.amdhsa_system_sgpr_workgroup_id_x 1
		.amdhsa_system_sgpr_workgroup_id_y 0
		.amdhsa_system_sgpr_workgroup_id_z 0
		.amdhsa_system_sgpr_workgroup_info 0
		.amdhsa_system_vgpr_workitem_id 0
		.amdhsa_next_free_vgpr 14
		.amdhsa_next_free_sgpr 25
		.amdhsa_named_barrier_count 0
		.amdhsa_reserve_vcc 1
		.amdhsa_float_round_mode_32 0
		.amdhsa_float_round_mode_16_64 0
		.amdhsa_float_denorm_mode_32 3
		.amdhsa_float_denorm_mode_16_64 3
		.amdhsa_fp16_overflow 0
		.amdhsa_memory_ordered 1
		.amdhsa_forward_progress 1
		.amdhsa_inst_pref_size 4
		.amdhsa_round_robin_scheduling 0
		.amdhsa_exception_fp_ieee_invalid_op 0
		.amdhsa_exception_fp_denorm_src 0
		.amdhsa_exception_fp_ieee_div_zero 0
		.amdhsa_exception_fp_ieee_overflow 0
		.amdhsa_exception_fp_ieee_underflow 0
		.amdhsa_exception_fp_ieee_inexact 0
		.amdhsa_exception_int_div_zero 0
	.end_amdhsa_kernel
	.section	.text._Z22update_cashflow_kernelILi128E10PayoffCallEviT0_dPKdS3_PKiPd,"axG",@progbits,_Z22update_cashflow_kernelILi128E10PayoffCallEviT0_dPKdS3_PKiPd,comdat
.Lfunc_end10:
	.size	_Z22update_cashflow_kernelILi128E10PayoffCallEviT0_dPKdS3_PKiPd, .Lfunc_end10-_Z22update_cashflow_kernelILi128E10PayoffCallEviT0_dPKdS3_PKiPd
                                        ; -- End function
	.set _Z22update_cashflow_kernelILi128E10PayoffCallEviT0_dPKdS3_PKiPd.num_vgpr, 14
	.set _Z22update_cashflow_kernelILi128E10PayoffCallEviT0_dPKdS3_PKiPd.num_agpr, 0
	.set _Z22update_cashflow_kernelILi128E10PayoffCallEviT0_dPKdS3_PKiPd.numbered_sgpr, 25
	.set _Z22update_cashflow_kernelILi128E10PayoffCallEviT0_dPKdS3_PKiPd.num_named_barrier, 0
	.set _Z22update_cashflow_kernelILi128E10PayoffCallEviT0_dPKdS3_PKiPd.private_seg_size, 0
	.set _Z22update_cashflow_kernelILi128E10PayoffCallEviT0_dPKdS3_PKiPd.uses_vcc, 1
	.set _Z22update_cashflow_kernelILi128E10PayoffCallEviT0_dPKdS3_PKiPd.uses_flat_scratch, 0
	.set _Z22update_cashflow_kernelILi128E10PayoffCallEviT0_dPKdS3_PKiPd.has_dyn_sized_stack, 0
	.set _Z22update_cashflow_kernelILi128E10PayoffCallEviT0_dPKdS3_PKiPd.has_recursion, 0
	.set _Z22update_cashflow_kernelILi128E10PayoffCallEviT0_dPKdS3_PKiPd.has_indirect_call, 0
	.section	.AMDGPU.csdata,"",@progbits
; Kernel info:
; codeLenInByte = 408
; TotalNumSgprs: 27
; NumVgprs: 14
; ScratchSize: 0
; MemoryBound: 0
; FloatMode: 240
; IeeeMode: 1
; LDSByteSize: 0 bytes/workgroup (compile time only)
; SGPRBlocks: 0
; VGPRBlocks: 0
; NumSGPRsForWavesPerEU: 27
; NumVGPRsForWavesPerEU: 14
; NamedBarCnt: 0
; Occupancy: 16
; WaveLimiterHint : 0
; COMPUTE_PGM_RSRC2:SCRATCH_EN: 0
; COMPUTE_PGM_RSRC2:USER_SGPR: 2
; COMPUTE_PGM_RSRC2:TRAP_HANDLER: 0
; COMPUTE_PGM_RSRC2:TGID_X_EN: 1
; COMPUTE_PGM_RSRC2:TGID_Y_EN: 0
; COMPUTE_PGM_RSRC2:TGID_Z_EN: 0
; COMPUTE_PGM_RSRC2:TIDIG_COMP_CNT: 0
	.section	.AMDGPU.gpr_maximums,"",@progbits
	.set amdgpu.max_num_vgpr, 0
	.set amdgpu.max_num_agpr, 0
	.set amdgpu.max_num_sgpr, 0
	.section	.AMDGPU.csdata,"",@progbits
	.type	__hip_cuid_3292f120f17639a,@object ; @__hip_cuid_3292f120f17639a
	.section	.bss,"aw",@nobits
	.globl	__hip_cuid_3292f120f17639a
__hip_cuid_3292f120f17639a:
	.byte	0                               ; 0x0
	.size	__hip_cuid_3292f120f17639a, 1

	.ident	"AMD clang version 22.0.0git (https://github.com/RadeonOpenCompute/llvm-project roc-7.2.4 26084 f58b06dce1f9c15707c5f808fd002e18c2accf7e)"
	.section	".note.GNU-stack","",@progbits
	.addrsig
	.addrsig_sym __hip_cuid_3292f120f17639a
	.amdgpu_metadata
---
amdhsa.kernels:
  - .args:
      - .offset:         0
        .size:           4
        .value_kind:     by_value
      - .offset:         4
        .size:           4
        .value_kind:     by_value
      - .offset:         8
        .size:           8
        .value_kind:     by_value
      - .offset:         16
        .size:           8
        .value_kind:     by_value
      - .offset:         24
        .size:           8
        .value_kind:     by_value
      - .offset:         32
        .size:           8
        .value_kind:     by_value
      - .offset:         40
        .size:           8
        .value_kind:     by_value
      - .actual_access:  read_only
        .address_space:  global
        .offset:         48
        .size:           8
        .value_kind:     global_buffer
      - .actual_access:  write_only
        .address_space:  global
        .offset:         56
        .size:           8
        .value_kind:     global_buffer
    .group_segment_fixed_size: 0
    .kernarg_segment_align: 8
    .kernarg_segment_size: 64
    .language:       OpenCL C
    .language_version:
      - 2
      - 0
    .max_flat_workgroup_size: 256
    .name:           _Z21generate_paths_kernelILi256E9PayoffPutEviiT0_ddddPKdPd
    .private_segment_fixed_size: 0
    .sgpr_count:     20
    .sgpr_spill_count: 0
    .symbol:         _Z21generate_paths_kernelILi256E9PayoffPutEviiT0_ddddPKdPd.kd
    .uniform_work_group_size: 1
    .uses_dynamic_stack: false
    .vgpr_count:     20
    .vgpr_spill_count: 0
    .wavefront_size: 32
  - .args:
      - .offset:         0
        .size:           4
        .value_kind:     by_value
      - .offset:         4
        .size:           4
        .value_kind:     by_value
      - .offset:         8
        .size:           8
        .value_kind:     by_value
      - .actual_access:  read_only
        .address_space:  global
        .offset:         16
        .size:           8
        .value_kind:     global_buffer
      - .actual_access:  write_only
        .address_space:  global
        .offset:         24
        .size:           8
        .value_kind:     global_buffer
      - .actual_access:  write_only
        .address_space:  global
        .offset:         32
        .size:           8
        .value_kind:     global_buffer
    .group_segment_fixed_size: 2192
    .kernarg_segment_align: 8
    .kernarg_segment_size: 40
    .language:       OpenCL C
    .language_version:
      - 2
      - 0
    .max_flat_workgroup_size: 256
    .name:           _Z18prepare_svd_kernelILi256E9PayoffPutEviiT0_PKdPiPd
    .private_segment_fixed_size: 0
    .sgpr_count:     23
    .sgpr_spill_count: 0
    .symbol:         _Z18prepare_svd_kernelILi256E9PayoffPutEviiT0_PKdPiPd.kd
    .uniform_work_group_size: 1
    .uses_dynamic_stack: false
    .vgpr_count:     74
    .vgpr_spill_count: 0
    .wavefront_size: 32
  - .args:
      - .offset:         0
        .size:           4
        .value_kind:     by_value
      - .offset:         8
        .size:           8
        .value_kind:     by_value
      - .actual_access:  read_only
        .address_space:  global
        .offset:         16
        .size:           8
        .value_kind:     global_buffer
      - .actual_access:  read_only
        .address_space:  global
        .offset:         24
        .size:           8
        .value_kind:     global_buffer
      - .actual_access:  read_only
        .address_space:  global
        .offset:         32
        .size:           8
        .value_kind:     global_buffer
      - .actual_access:  read_only
        .address_space:  global
        .offset:         40
        .size:           8
        .value_kind:     global_buffer
      - .actual_access:  write_only
        .address_space:  global
        .offset:         48
        .size:           8
        .value_kind:     global_buffer
      - .offset:         56
        .size:           4
        .value_kind:     hidden_block_count_x
      - .offset:         60
        .size:           4
        .value_kind:     hidden_block_count_y
      - .offset:         64
        .size:           4
        .value_kind:     hidden_block_count_z
      - .offset:         68
        .size:           2
        .value_kind:     hidden_group_size_x
      - .offset:         70
        .size:           2
        .value_kind:     hidden_group_size_y
      - .offset:         72
        .size:           2
        .value_kind:     hidden_group_size_z
      - .offset:         74
        .size:           2
        .value_kind:     hidden_remainder_x
      - .offset:         76
        .size:           2
        .value_kind:     hidden_remainder_y
      - .offset:         78
        .size:           2
        .value_kind:     hidden_remainder_z
      - .offset:         96
        .size:           8
        .value_kind:     hidden_global_offset_x
      - .offset:         104
        .size:           8
        .value_kind:     hidden_global_offset_y
      - .offset:         112
        .size:           8
        .value_kind:     hidden_global_offset_z
      - .offset:         120
        .size:           2
        .value_kind:     hidden_grid_dims
    .group_segment_fixed_size: 120
    .kernarg_segment_align: 8
    .kernarg_segment_size: 312
    .language:       OpenCL C
    .language_version:
      - 2
      - 0
    .max_flat_workgroup_size: 128
    .name:           _Z27compute_partial_beta_kernelILi128E9PayoffPutEviT0_PKdS3_S3_PKiPd
    .private_segment_fixed_size: 0
    .sgpr_count:     18
    .sgpr_spill_count: 0
    .symbol:         _Z27compute_partial_beta_kernelILi128E9PayoffPutEviT0_PKdS3_S3_PKiPd.kd
    .uniform_work_group_size: 1
    .uses_dynamic_stack: false
    .vgpr_count:     44
    .vgpr_spill_count: 0
    .wavefront_size: 32
  - .args:
      - .actual_access:  read_only
        .address_space:  global
        .offset:         0
        .size:           8
        .value_kind:     global_buffer
      - .address_space:  global
        .offset:         8
        .size:           8
        .value_kind:     global_buffer
    .group_segment_fixed_size: 24
    .kernarg_segment_align: 8
    .kernarg_segment_size: 16
    .language:       OpenCL C
    .language_version:
      - 2
      - 0
    .max_flat_workgroup_size: 128
    .name:           _Z25compute_final_beta_kernelILi128EEvPKiPd
    .private_segment_fixed_size: 0
    .sgpr_count:     8
    .sgpr_spill_count: 0
    .symbol:         _Z25compute_final_beta_kernelILi128EEvPKiPd.kd
    .uniform_work_group_size: 1
    .uses_dynamic_stack: false
    .vgpr_count:     12
    .vgpr_spill_count: 0
    .wavefront_size: 32
  - .args:
      - .offset:         0
        .size:           4
        .value_kind:     by_value
      - .offset:         8
        .size:           8
        .value_kind:     by_value
      - .offset:         16
        .size:           8
        .value_kind:     by_value
      - .actual_access:  read_only
        .address_space:  global
        .offset:         24
        .size:           8
        .value_kind:     global_buffer
      - .actual_access:  read_only
        .address_space:  global
        .offset:         32
        .size:           8
        .value_kind:     global_buffer
      - .actual_access:  read_only
        .address_space:  global
        .offset:         40
        .size:           8
        .value_kind:     global_buffer
      - .address_space:  global
        .offset:         48
        .size:           8
        .value_kind:     global_buffer
      - .offset:         56
        .size:           4
        .value_kind:     hidden_block_count_x
      - .offset:         60
        .size:           4
        .value_kind:     hidden_block_count_y
      - .offset:         64
        .size:           4
        .value_kind:     hidden_block_count_z
      - .offset:         68
        .size:           2
        .value_kind:     hidden_group_size_x
      - .offset:         70
        .size:           2
        .value_kind:     hidden_group_size_y
      - .offset:         72
        .size:           2
        .value_kind:     hidden_group_size_z
      - .offset:         74
        .size:           2
        .value_kind:     hidden_remainder_x
      - .offset:         76
        .size:           2
        .value_kind:     hidden_remainder_y
      - .offset:         78
        .size:           2
        .value_kind:     hidden_remainder_z
      - .offset:         96
        .size:           8
        .value_kind:     hidden_global_offset_x
      - .offset:         104
        .size:           8
        .value_kind:     hidden_global_offset_y
      - .offset:         112
        .size:           8
        .value_kind:     hidden_global_offset_z
      - .offset:         120
        .size:           2
        .value_kind:     hidden_grid_dims
    .group_segment_fixed_size: 0
    .kernarg_segment_align: 8
    .kernarg_segment_size: 312
    .language:       OpenCL C
    .language_version:
      - 2
      - 0
    .max_flat_workgroup_size: 128
    .name:           _Z22update_cashflow_kernelILi128E9PayoffPutEviT0_dPKdS3_PKiPd
    .private_segment_fixed_size: 0
    .sgpr_count:     27
    .sgpr_spill_count: 0
    .symbol:         _Z22update_cashflow_kernelILi128E9PayoffPutEviT0_dPKdS3_PKiPd.kd
    .uniform_work_group_size: 1
    .uses_dynamic_stack: false
    .vgpr_count:     14
    .vgpr_spill_count: 0
    .wavefront_size: 32
  - .args:
      - .offset:         0
        .size:           4
        .value_kind:     by_value
      - .actual_access:  read_only
        .address_space:  global
        .offset:         8
        .size:           8
        .value_kind:     global_buffer
      - .actual_access:  write_only
        .address_space:  global
        .offset:         16
        .size:           8
        .value_kind:     global_buffer
    .group_segment_fixed_size: 8
    .kernarg_segment_align: 8
    .kernarg_segment_size: 24
    .language:       OpenCL C
    .language_version:
      - 2
      - 0
    .max_flat_workgroup_size: 128
    .name:           _Z27compute_partial_sums_kernelILi128EEviPKdPd
    .private_segment_fixed_size: 0
    .sgpr_count:     10
    .sgpr_spill_count: 0
    .symbol:         _Z27compute_partial_sums_kernelILi128EEviPKdPd.kd
    .uniform_work_group_size: 1
    .uses_dynamic_stack: false
    .vgpr_count:     5
    .vgpr_spill_count: 0
    .wavefront_size: 32
  - .args:
      - .offset:         0
        .size:           4
        .value_kind:     by_value
      - .offset:         4
        .size:           4
        .value_kind:     by_value
      - .offset:         8
        .size:           8
        .value_kind:     by_value
      - .address_space:  global
        .offset:         16
        .size:           8
        .value_kind:     global_buffer
    .group_segment_fixed_size: 8
    .kernarg_segment_align: 8
    .kernarg_segment_size: 24
    .language:       OpenCL C
    .language_version:
      - 2
      - 0
    .max_flat_workgroup_size: 128
    .name:           _Z24compute_final_sum_kernelILi128EEviidPd
    .private_segment_fixed_size: 0
    .sgpr_count:     12
    .sgpr_spill_count: 0
    .symbol:         _Z24compute_final_sum_kernelILi128EEviidPd.kd
    .uniform_work_group_size: 1
    .uses_dynamic_stack: false
    .vgpr_count:     13
    .vgpr_spill_count: 0
    .wavefront_size: 32
  - .args:
      - .offset:         0
        .size:           4
        .value_kind:     by_value
      - .offset:         4
        .size:           4
        .value_kind:     by_value
      - .offset:         8
        .size:           8
        .value_kind:     by_value
      - .offset:         16
        .size:           8
        .value_kind:     by_value
      - .offset:         24
        .size:           8
        .value_kind:     by_value
      - .offset:         32
        .size:           8
        .value_kind:     by_value
      - .offset:         40
        .size:           8
        .value_kind:     by_value
      - .actual_access:  read_only
        .address_space:  global
        .offset:         48
        .size:           8
        .value_kind:     global_buffer
      - .actual_access:  write_only
        .address_space:  global
        .offset:         56
        .size:           8
        .value_kind:     global_buffer
    .group_segment_fixed_size: 0
    .kernarg_segment_align: 8
    .kernarg_segment_size: 64
    .language:       OpenCL C
    .language_version:
      - 2
      - 0
    .max_flat_workgroup_size: 256
    .name:           _Z21generate_paths_kernelILi256E10PayoffCallEviiT0_ddddPKdPd
    .private_segment_fixed_size: 0
    .sgpr_count:     20
    .sgpr_spill_count: 0
    .symbol:         _Z21generate_paths_kernelILi256E10PayoffCallEviiT0_ddddPKdPd.kd
    .uniform_work_group_size: 1
    .uses_dynamic_stack: false
    .vgpr_count:     20
    .vgpr_spill_count: 0
    .wavefront_size: 32
  - .args:
      - .offset:         0
        .size:           4
        .value_kind:     by_value
      - .offset:         4
        .size:           4
        .value_kind:     by_value
      - .offset:         8
        .size:           8
        .value_kind:     by_value
      - .actual_access:  read_only
        .address_space:  global
        .offset:         16
        .size:           8
        .value_kind:     global_buffer
      - .actual_access:  write_only
        .address_space:  global
        .offset:         24
        .size:           8
        .value_kind:     global_buffer
      - .actual_access:  write_only
        .address_space:  global
        .offset:         32
        .size:           8
        .value_kind:     global_buffer
    .group_segment_fixed_size: 2192
    .kernarg_segment_align: 8
    .kernarg_segment_size: 40
    .language:       OpenCL C
    .language_version:
      - 2
      - 0
    .max_flat_workgroup_size: 256
    .name:           _Z18prepare_svd_kernelILi256E10PayoffCallEviiT0_PKdPiPd
    .private_segment_fixed_size: 0
    .sgpr_count:     23
    .sgpr_spill_count: 0
    .symbol:         _Z18prepare_svd_kernelILi256E10PayoffCallEviiT0_PKdPiPd.kd
    .uniform_work_group_size: 1
    .uses_dynamic_stack: false
    .vgpr_count:     74
    .vgpr_spill_count: 0
    .wavefront_size: 32
  - .args:
      - .offset:         0
        .size:           4
        .value_kind:     by_value
      - .offset:         8
        .size:           8
        .value_kind:     by_value
      - .actual_access:  read_only
        .address_space:  global
        .offset:         16
        .size:           8
        .value_kind:     global_buffer
      - .actual_access:  read_only
        .address_space:  global
        .offset:         24
        .size:           8
        .value_kind:     global_buffer
      - .actual_access:  read_only
        .address_space:  global
        .offset:         32
        .size:           8
        .value_kind:     global_buffer
      - .actual_access:  read_only
        .address_space:  global
        .offset:         40
        .size:           8
        .value_kind:     global_buffer
      - .actual_access:  write_only
        .address_space:  global
        .offset:         48
        .size:           8
        .value_kind:     global_buffer
      - .offset:         56
        .size:           4
        .value_kind:     hidden_block_count_x
      - .offset:         60
        .size:           4
        .value_kind:     hidden_block_count_y
      - .offset:         64
        .size:           4
        .value_kind:     hidden_block_count_z
      - .offset:         68
        .size:           2
        .value_kind:     hidden_group_size_x
      - .offset:         70
        .size:           2
        .value_kind:     hidden_group_size_y
      - .offset:         72
        .size:           2
        .value_kind:     hidden_group_size_z
      - .offset:         74
        .size:           2
        .value_kind:     hidden_remainder_x
      - .offset:         76
        .size:           2
        .value_kind:     hidden_remainder_y
      - .offset:         78
        .size:           2
        .value_kind:     hidden_remainder_z
      - .offset:         96
        .size:           8
        .value_kind:     hidden_global_offset_x
      - .offset:         104
        .size:           8
        .value_kind:     hidden_global_offset_y
      - .offset:         112
        .size:           8
        .value_kind:     hidden_global_offset_z
      - .offset:         120
        .size:           2
        .value_kind:     hidden_grid_dims
    .group_segment_fixed_size: 120
    .kernarg_segment_align: 8
    .kernarg_segment_size: 312
    .language:       OpenCL C
    .language_version:
      - 2
      - 0
    .max_flat_workgroup_size: 128
    .name:           _Z27compute_partial_beta_kernelILi128E10PayoffCallEviT0_PKdS3_S3_PKiPd
    .private_segment_fixed_size: 0
    .sgpr_count:     18
    .sgpr_spill_count: 0
    .symbol:         _Z27compute_partial_beta_kernelILi128E10PayoffCallEviT0_PKdS3_S3_PKiPd.kd
    .uniform_work_group_size: 1
    .uses_dynamic_stack: false
    .vgpr_count:     44
    .vgpr_spill_count: 0
    .wavefront_size: 32
  - .args:
      - .offset:         0
        .size:           4
        .value_kind:     by_value
      - .offset:         8
        .size:           8
        .value_kind:     by_value
      - .offset:         16
        .size:           8
        .value_kind:     by_value
      - .actual_access:  read_only
        .address_space:  global
        .offset:         24
        .size:           8
        .value_kind:     global_buffer
      - .actual_access:  read_only
        .address_space:  global
        .offset:         32
        .size:           8
        .value_kind:     global_buffer
      - .actual_access:  read_only
        .address_space:  global
        .offset:         40
        .size:           8
        .value_kind:     global_buffer
      - .address_space:  global
        .offset:         48
        .size:           8
        .value_kind:     global_buffer
      - .offset:         56
        .size:           4
        .value_kind:     hidden_block_count_x
      - .offset:         60
        .size:           4
        .value_kind:     hidden_block_count_y
      - .offset:         64
        .size:           4
        .value_kind:     hidden_block_count_z
      - .offset:         68
        .size:           2
        .value_kind:     hidden_group_size_x
      - .offset:         70
        .size:           2
        .value_kind:     hidden_group_size_y
      - .offset:         72
        .size:           2
        .value_kind:     hidden_group_size_z
      - .offset:         74
        .size:           2
        .value_kind:     hidden_remainder_x
      - .offset:         76
        .size:           2
        .value_kind:     hidden_remainder_y
      - .offset:         78
        .size:           2
        .value_kind:     hidden_remainder_z
      - .offset:         96
        .size:           8
        .value_kind:     hidden_global_offset_x
      - .offset:         104
        .size:           8
        .value_kind:     hidden_global_offset_y
      - .offset:         112
        .size:           8
        .value_kind:     hidden_global_offset_z
      - .offset:         120
        .size:           2
        .value_kind:     hidden_grid_dims
    .group_segment_fixed_size: 0
    .kernarg_segment_align: 8
    .kernarg_segment_size: 312
    .language:       OpenCL C
    .language_version:
      - 2
      - 0
    .max_flat_workgroup_size: 128
    .name:           _Z22update_cashflow_kernelILi128E10PayoffCallEviT0_dPKdS3_PKiPd
    .private_segment_fixed_size: 0
    .sgpr_count:     27
    .sgpr_spill_count: 0
    .symbol:         _Z22update_cashflow_kernelILi128E10PayoffCallEviT0_dPKdS3_PKiPd.kd
    .uniform_work_group_size: 1
    .uses_dynamic_stack: false
    .vgpr_count:     14
    .vgpr_spill_count: 0
    .wavefront_size: 32
amdhsa.target:   amdgcn-amd-amdhsa--gfx1250
amdhsa.version:
  - 1
  - 2
...

	.end_amdgpu_metadata
